;; amdgpu-corpus repo=ROCm/rocFFT kind=compiled arch=gfx1030 opt=O3
	.text
	.amdgcn_target "amdgcn-amd-amdhsa--gfx1030"
	.amdhsa_code_object_version 6
	.protected	bluestein_single_back_len520_dim1_sp_op_CI_CI ; -- Begin function bluestein_single_back_len520_dim1_sp_op_CI_CI
	.globl	bluestein_single_back_len520_dim1_sp_op_CI_CI
	.p2align	8
	.type	bluestein_single_back_len520_dim1_sp_op_CI_CI,@function
bluestein_single_back_len520_dim1_sp_op_CI_CI: ; @bluestein_single_back_len520_dim1_sp_op_CI_CI
; %bb.0:
	s_load_dwordx4 s[0:3], s[4:5], 0x28
	v_mul_u32_u24_e32 v1, 0x4ed, v0
	v_mov_b32_e32 v57, 0
	v_lshrrev_b32_e32 v1, 16, v1
	v_add_nc_u32_e32 v56, s6, v1
	s_waitcnt lgkmcnt(0)
	v_cmp_gt_u64_e32 vcc_lo, s[0:1], v[56:57]
	s_and_saveexec_b32 s0, vcc_lo
	s_cbranch_execz .LBB0_23
; %bb.1:
	v_mul_lo_u16 v1, v1, 52
	s_clause 0x1
	s_load_dwordx2 s[14:15], s[4:5], 0x0
	s_load_dwordx2 s[12:13], s[4:5], 0x38
	v_sub_nc_u16 v0, v0, v1
	v_and_b32_e32 v71, 0xffff, v0
	v_cmp_gt_u16_e32 vcc_lo, 40, v0
	v_lshlrev_b32_e32 v69, 3, v71
	v_or_b32_e32 v70, 0x140, v71
	s_and_saveexec_b32 s1, vcc_lo
	s_cbranch_execz .LBB0_3
; %bb.2:
	s_load_dwordx2 s[6:7], s[4:5], 0x18
	v_lshlrev_b32_e32 v15, 3, v70
	v_add_nc_u32_e32 v57, 0x800, v69
	s_waitcnt lgkmcnt(0)
	s_load_dwordx4 s[8:11], s[6:7], 0x0
	s_waitcnt lgkmcnt(0)
	v_mad_u64_u32 v[0:1], null, s10, v56, 0
	v_mad_u64_u32 v[2:3], null, s8, v71, 0
	s_mul_i32 s6, s9, 0x140
	s_mul_hi_u32 s7, s8, 0x140
	s_mul_i32 s10, s8, 0x140
	s_add_i32 s7, s7, s6
	v_mad_u64_u32 v[4:5], null, s11, v56, v[1:2]
	v_mad_u64_u32 v[5:6], null, s9, v71, v[3:4]
	s_clause 0x2
	global_load_dwordx2 v[6:7], v69, s[14:15]
	global_load_dwordx2 v[8:9], v69, s[14:15] offset:320
	global_load_dwordx2 v[15:16], v15, s[14:15]
	v_mov_b32_e32 v1, v4
	v_mov_b32_e32 v3, v5
	v_lshlrev_b64 v[0:1], 3, v[0:1]
	v_lshlrev_b64 v[2:3], 3, v[2:3]
	v_add_co_u32 v23, s0, s2, v0
	v_add_co_ci_u32_e64 v24, s0, s3, v1, s0
	v_mad_u64_u32 v[0:1], null, s8, v70, 0
	v_add_co_u32 v2, s0, v23, v2
	v_add_co_ci_u32_e64 v3, s0, v24, v3, s0
	v_add_co_u32 v4, s0, v2, s10
	v_add_co_ci_u32_e64 v5, s0, s7, v3, s0
	v_mad_u64_u32 v[12:13], null, s9, v70, v[1:2]
	v_add_co_u32 v10, s0, v4, s10
	v_add_co_ci_u32_e64 v11, s0, s7, v5, s0
	v_add_co_u32 v13, s0, v10, s10
	v_add_co_ci_u32_e64 v14, s0, s7, v11, s0
	v_mov_b32_e32 v1, v12
	v_add_co_u32 v17, s0, v13, s10
	v_add_co_ci_u32_e64 v18, s0, s7, v14, s0
	v_lshlrev_b64 v[0:1], 3, v[0:1]
	v_add_co_u32 v19, s0, v17, s10
	v_add_co_ci_u32_e64 v20, s0, s7, v18, s0
	v_add_co_u32 v21, s0, v19, s10
	v_add_co_ci_u32_e64 v22, s0, s7, v20, s0
	;; [unrolled: 2-line block ×4, first 2 shown]
	s_clause 0x2
	global_load_dwordx2 v[0:1], v[0:1], off
	global_load_dwordx2 v[2:3], v[2:3], off
	;; [unrolled: 1-line block ×3, first 2 shown]
	s_clause 0x1
	global_load_dwordx2 v[27:28], v69, s[14:15] offset:640
	global_load_dwordx2 v[29:30], v69, s[14:15] offset:960
	s_clause 0x1
	global_load_dwordx2 v[10:11], v[10:11], off
	global_load_dwordx2 v[12:13], v[13:14], off
	v_add_co_u32 v31, s0, s14, v69
	v_mad_u64_u32 v[25:26], null, 0x280, s8, v[23:24]
	v_add_co_ci_u32_e64 v32, null, s15, 0, s0
	v_add_co_u32 v31, s0, 0x800, v31
	global_load_dwordx2 v[17:18], v[17:18], off
	v_add_co_ci_u32_e64 v32, s0, 0, v32, s0
	v_mov_b32_e32 v14, v26
	v_add_co_u32 v46, s0, v25, s10
	s_waitcnt vmcnt(8)
	v_mad_u64_u32 v[33:34], null, 0x280, s9, v[14:15]
	s_clause 0x5
	global_load_dwordx2 v[34:35], v69, s[14:15] offset:1280
	global_load_dwordx2 v[36:37], v69, s[14:15] offset:1600
	;; [unrolled: 1-line block ×3, first 2 shown]
	global_load_dwordx2 v[40:41], v[31:32], off offset:192
	global_load_dwordx2 v[42:43], v[31:32], off offset:832
	;; [unrolled: 1-line block ×3, first 2 shown]
	global_load_dwordx2 v[19:20], v[19:20], off
	global_load_dwordx2 v[21:22], v[21:22], off
	global_load_dwordx2 v[23:24], v[23:24], off
	v_mov_b32_e32 v26, v33
	v_add_nc_u32_e32 v33, 0x400, v69
	v_add_co_ci_u32_e64 v47, s0, s7, v26, s0
	v_add_co_u32 v48, s0, v46, s10
	global_load_dwordx2 v[25:26], v[25:26], off
	v_add_co_ci_u32_e64 v49, s0, s7, v47, s0
	v_add_co_u32 v50, s0, v48, s10
	global_load_dwordx2 v[46:47], v[46:47], off
	v_add_co_ci_u32_e64 v51, s0, s7, v49, s0
	global_load_dwordx2 v[52:53], v[31:32], off offset:1472
	global_load_dwordx2 v[48:49], v[48:49], off
	global_load_dwordx2 v[31:32], v[31:32], off offset:1792
	global_load_dwordx2 v[50:51], v[50:51], off
	s_waitcnt vmcnt(21)
	v_mul_f32_e32 v14, v2, v7
	v_mul_f32_e32 v54, v3, v7
	;; [unrolled: 1-line block ×3, first 2 shown]
	s_waitcnt vmcnt(20)
	v_mul_f32_e32 v58, v4, v9
	v_mul_f32_e32 v16, v0, v16
	v_fma_f32 v55, v3, v6, -v14
	v_fmac_f32_e32 v54, v2, v6
	v_mul_f32_e32 v2, v5, v9
	v_fmac_f32_e32 v7, v0, v15
	v_fma_f32 v3, v5, v8, -v58
	s_waitcnt vmcnt(17)
	v_mul_f32_e32 v5, v11, v28
	v_mul_f32_e32 v0, v10, v28
	s_waitcnt vmcnt(16)
	v_mul_f32_e32 v9, v13, v30
	v_mul_f32_e32 v14, v12, v30
	v_fmac_f32_e32 v2, v4, v8
	v_fmac_f32_e32 v5, v10, v27
	v_fma_f32 v6, v11, v27, -v0
	v_fmac_f32_e32 v9, v12, v29
	v_fma_f32 v10, v13, v29, -v14
	ds_write2_b64 v69, v[54:55], v[2:3] offset1:40
	v_fma_f32 v8, v1, v15, -v16
	ds_write2_b64 v69, v[5:6], v[9:10] offset0:80 offset1:120
	s_waitcnt vmcnt(14)
	v_mul_f32_e32 v0, v18, v35
	v_mul_f32_e32 v1, v17, v35
	v_fmac_f32_e32 v0, v17, v34
	s_waitcnt vmcnt(8)
	v_mul_f32_e32 v2, v20, v37
	v_mul_f32_e32 v3, v19, v37
	s_waitcnt vmcnt(6)
	v_mul_f32_e32 v6, v23, v41
	v_mul_f32_e32 v4, v22, v39
	;; [unrolled: 1-line block ×4, first 2 shown]
	v_fma_f32 v1, v18, v34, -v1
	v_fma_f32 v10, v24, v40, -v6
	v_fmac_f32_e32 v2, v19, v36
	v_fma_f32 v3, v20, v36, -v3
	v_fmac_f32_e32 v4, v21, v38
	;; [unrolled: 2-line block ×3, first 2 shown]
	s_waitcnt vmcnt(5)
	v_mul_f32_e32 v11, v26, v43
	v_mul_f32_e32 v12, v25, v43
	s_waitcnt vmcnt(4)
	v_mul_f32_e32 v13, v47, v45
	v_mul_f32_e32 v6, v46, v45
	;; [unrolled: 3-line block ×4, first 2 shown]
	v_fmac_f32_e32 v11, v25, v42
	v_fma_f32 v12, v26, v42, -v12
	v_fmac_f32_e32 v13, v46, v44
	v_fma_f32 v14, v47, v44, -v6
	;; [unrolled: 2-line block ×4, first 2 shown]
	ds_write2_b64 v69, v[0:1], v[2:3] offset0:160 offset1:200
	ds_write2_b64 v33, v[4:5], v[9:10] offset0:112 offset1:152
	;; [unrolled: 1-line block ×4, first 2 shown]
	ds_write_b64 v69, v[17:18] offset:3840
.LBB0_3:
	s_or_b32 exec_lo, exec_lo, s1
	s_load_dwordx2 s[0:1], s[4:5], 0x20
	v_mov_b32_e32 v4, 0
	v_mov_b32_e32 v5, 0
	s_waitcnt lgkmcnt(0)
	s_barrier
	buffer_gl0_inv
                                        ; implicit-def: $vgpr14
                                        ; implicit-def: $vgpr2
                                        ; implicit-def: $vgpr24
                                        ; implicit-def: $vgpr10
                                        ; implicit-def: $vgpr18
                                        ; implicit-def: $vgpr22
	s_and_saveexec_b32 s2, vcc_lo
	s_cbranch_execz .LBB0_5
; %bb.4:
	v_add_nc_u32_e32 v0, 0x400, v69
	v_add_nc_u32_e32 v1, 0x800, v69
	ds_read2_b64 v[4:7], v69 offset1:40
	ds_read2_b64 v[20:23], v69 offset0:80 offset1:120
	ds_read2_b64 v[16:19], v69 offset0:160 offset1:200
	;; [unrolled: 1-line block ×5, first 2 shown]
	ds_read_b64 v[24:25], v69 offset:3840
.LBB0_5:
	s_or_b32 exec_lo, exec_lo, s2
	s_waitcnt lgkmcnt(0)
	v_sub_f32_e32 v75, v7, v25
	v_sub_f32_e32 v54, v6, v24
	v_add_f32_e32 v26, v24, v6
	v_sub_f32_e32 v77, v21, v3
	v_add_f32_e32 v32, v25, v7
	v_mul_f32_e32 v38, 0xbeedf032, v75
	v_mul_f32_e32 v41, 0xbeedf032, v54
	v_add_f32_e32 v27, v2, v20
	v_sub_f32_e32 v59, v20, v2
	v_mul_f32_e32 v40, 0xbf52af12, v77
	v_fmamk_f32 v28, v26, 0x3f62ad3f, v38
	v_sub_f32_e32 v80, v23, v1
	v_fma_f32 v29, 0x3f62ad3f, v32, -v41
	v_add_f32_e32 v33, v3, v21
	v_mul_f32_e32 v44, 0xbf52af12, v59
	v_add_f32_e32 v28, v28, v4
	v_fmamk_f32 v30, v27, 0x3f116cb1, v40
	v_sub_f32_e32 v66, v22, v0
	v_add_f32_e32 v34, v0, v22
	v_mul_f32_e32 v42, 0xbf7e222b, v80
	v_sub_f32_e32 v82, v17, v11
	v_add_f32_e32 v29, v29, v5
	v_fma_f32 v31, 0x3f116cb1, v33, -v44
	v_add_f32_e32 v28, v30, v28
	v_add_f32_e32 v35, v1, v23
	v_mul_f32_e32 v46, 0xbf7e222b, v66
	v_fmamk_f32 v30, v34, 0x3df6dbef, v42
	v_sub_f32_e32 v76, v16, v10
	v_add_f32_e32 v36, v10, v16
	v_mul_f32_e32 v47, 0xbf6f5d39, v82
	v_sub_f32_e32 v84, v19, v9
	v_add_f32_e32 v29, v31, v29
	v_fma_f32 v31, 0x3df6dbef, v35, -v46
	v_add_f32_e32 v37, v11, v17
	v_mul_f32_e32 v48, 0xbf6f5d39, v76
	v_add_f32_e32 v28, v30, v28
	v_fmamk_f32 v30, v36, 0xbeb58ec6, v47
	v_add_f32_e32 v39, v8, v18
	v_mul_f32_e32 v50, 0xbf29c268, v84
	v_sub_f32_e32 v79, v18, v8
	v_sub_f32_e32 v83, v13, v15
	v_add_f32_e32 v29, v31, v29
	v_fma_f32 v31, 0xbeb58ec6, v37, -v48
	v_add_f32_e32 v28, v30, v28
	v_add_f32_e32 v45, v9, v19
	v_fmamk_f32 v30, v39, 0xbf3f9e67, v50
	v_mul_f32_e32 v52, 0xbf29c268, v79
	v_add_f32_e32 v43, v14, v12
	v_mul_f32_e32 v51, 0xbe750f2a, v83
	v_add_f32_e32 v29, v31, v29
	v_add_f32_e32 v28, v30, v28
	v_fma_f32 v30, 0xbf3f9e67, v45, -v52
	v_mul_f32_e32 v55, 0xbf52af12, v75
	v_fmamk_f32 v31, v43, 0xbf788fa5, v51
	v_mul_f32_e32 v73, 0xbf52af12, v54
	v_mul_f32_e32 v60, 0xbf6f5d39, v77
	v_add_f32_e32 v29, v30, v29
	v_mul_f32_e32 v74, 0xbf6f5d39, v59
	v_add_f32_e32 v57, v31, v28
	v_fmamk_f32 v28, v26, 0x3f116cb1, v55
	v_fma_f32 v30, 0x3f116cb1, v32, -v73
	v_fmamk_f32 v31, v27, 0xbeb58ec6, v60
	v_fma_f32 v53, 0xbeb58ec6, v33, -v74
	v_mul_f32_e32 v61, 0xbe750f2a, v80
	v_add_f32_e32 v28, v28, v4
	v_add_f32_e32 v30, v30, v5
	v_mul_f32_e32 v65, 0xbe750f2a, v66
	v_mul_f32_e32 v62, 0x3f29c268, v82
	;; [unrolled: 1-line block ×3, first 2 shown]
	v_add_f32_e32 v28, v31, v28
	v_add_f32_e32 v30, v53, v30
	v_fmamk_f32 v31, v34, 0xbf788fa5, v61
	v_fma_f32 v58, 0xbf788fa5, v35, -v65
	v_mul_f32_e32 v63, 0x3f7e222b, v84
	v_mul_f32_e32 v68, 0x3f7e222b, v79
	;; [unrolled: 1-line block ×3, first 2 shown]
	v_add_f32_e32 v28, v31, v28
	v_fmamk_f32 v31, v36, 0xbf3f9e67, v62
	v_add_f32_e32 v30, v58, v30
	v_fma_f32 v58, 0xbf3f9e67, v37, -v67
	v_fmamk_f32 v64, v26, 0x3df6dbef, v85
	v_mul_f32_e32 v86, 0xbe750f2a, v77
	v_add_f32_e32 v28, v31, v28
	v_fmamk_f32 v31, v39, 0x3df6dbef, v63
	v_add_f32_e32 v30, v58, v30
	v_fma_f32 v58, 0x3df6dbef, v45, -v68
	v_mul_f32_e32 v94, 0xbf7e222b, v54
	v_mul_f32_e32 v89, 0x3f6f5d39, v80
	v_add_f32_e32 v28, v31, v28
	v_mul_f32_e32 v96, 0xbe750f2a, v59
	v_add_f32_e32 v31, v58, v30
	v_add_f32_e32 v30, v64, v4
	v_fmamk_f32 v58, v27, 0xbf788fa5, v86
	v_fma_f32 v78, 0x3df6dbef, v32, -v94
	v_mul_f32_e32 v90, 0x3eedf032, v82
	v_fma_f32 v88, 0xbf788fa5, v33, -v96
	v_mul_f32_e32 v95, 0x3f6f5d39, v66
	v_add_f32_e32 v30, v58, v30
	v_fmamk_f32 v58, v34, 0xbeb58ec6, v89
	v_add_f32_e32 v81, v78, v5
	v_mul_f32_e32 v93, 0x3eedf032, v76
	v_fma_f32 v91, 0xbeb58ec6, v35, -v95
	v_sub_f32_e32 v87, v12, v14
	v_add_f32_e32 v30, v58, v30
	v_fmamk_f32 v58, v36, 0x3f62ad3f, v90
	v_add_f32_e32 v81, v88, v81
	v_mul_f32_e32 v88, 0xbf52af12, v84
	v_mul_f32_e32 v92, 0xbf52af12, v79
	s_load_dwordx2 s[2:3], s[4:5], 0x8
	v_add_f32_e32 v30, v58, v30
	v_add_f32_e32 v58, v91, v81
	v_fma_f32 v91, 0x3f62ad3f, v37, -v93
	v_add_f32_e32 v49, v15, v13
	v_mul_f32_e32 v53, 0xbe750f2a, v87
	v_mul_f32_e32 v64, 0x3eedf032, v83
	;; [unrolled: 1-line block ×3, first 2 shown]
	v_fmamk_f32 v98, v39, 0x3f116cb1, v88
	v_mul_f32_e32 v81, 0xbf29c268, v83
	v_add_f32_e32 v58, v91, v58
	v_fma_f32 v99, 0x3f116cb1, v45, -v92
	v_mul_f32_e32 v91, 0xbf29c268, v87
	v_fma_f32 v72, 0xbf788fa5, v49, -v53
	v_fmamk_f32 v97, v43, 0x3f62ad3f, v64
	v_fma_f32 v100, 0x3f62ad3f, v49, -v78
	v_add_f32_e32 v98, v98, v30
	v_fmamk_f32 v101, v43, 0xbf3f9e67, v81
	v_add_f32_e32 v99, v99, v58
	v_fma_f32 v102, 0xbf3f9e67, v49, -v91
	v_add_f32_e32 v58, v72, v29
	v_add_f32_e32 v30, v97, v28
	;; [unrolled: 1-line block ×5, first 2 shown]
	v_mul_lo_u16 v72, v71, 13
	s_waitcnt lgkmcnt(0)
	s_barrier
	buffer_gl0_inv
	s_and_saveexec_b32 s4, vcc_lo
	s_cbranch_execz .LBB0_7
; %bb.6:
	v_mul_f32_e32 v101, 0xbeb58ec6, v32
	v_mul_f32_e32 v103, 0xbf6f5d39, v75
	;; [unrolled: 1-line block ×5, first 2 shown]
	v_fmamk_f32 v97, v54, 0x3f6f5d39, v101
	v_fmamk_f32 v98, v26, 0xbeb58ec6, v103
	v_mul_f32_e32 v107, 0x3eedf032, v80
	v_fmamk_f32 v99, v59, 0xbf29c268, v102
	v_fmamk_f32 v100, v27, 0xbf3f9e67, v106
	v_add_f32_e32 v97, v97, v5
	v_add_f32_e32 v98, v98, v4
	v_mul_f32_e32 v105, 0x3df6dbef, v37
	v_mul_f32_e32 v108, 0xbf7e222b, v82
	v_fmamk_f32 v109, v66, 0xbeedf032, v104
	v_add_f32_e32 v97, v99, v97
	v_fmamk_f32 v99, v34, 0x3f62ad3f, v107
	v_add_f32_e32 v98, v100, v98
	v_mul_f32_e32 v110, 0xbf788fa5, v45
	v_fmamk_f32 v100, v76, 0x3f7e222b, v105
	v_add_f32_e32 v97, v109, v97
	v_fmamk_f32 v111, v36, 0x3df6dbef, v108
	v_add_f32_e32 v98, v99, v98
	v_mul_f32_e32 v109, 0x3e750f2a, v84
	v_fmamk_f32 v99, v79, 0xbe750f2a, v110
	v_add_f32_e32 v97, v100, v97
	v_mul_f32_e32 v112, 0x3f116cb1, v49
	v_add_f32_e32 v98, v111, v98
	v_mul_f32_e32 v111, 0xbe750f2a, v54
	v_fmamk_f32 v100, v39, 0xbf788fa5, v109
	v_add_f32_e32 v97, v99, v97
	v_fmamk_f32 v99, v87, 0xbf52af12, v112
	v_mul_f32_e32 v115, 0x3eedf032, v59
	v_fmamk_f32 v114, v32, 0xbf788fa5, v111
	v_add_f32_e32 v100, v100, v98
	v_mul_f32_e32 v117, 0xbf29c268, v66
	v_add_f32_e32 v98, v99, v97
	v_mul_f32_e32 v119, 0x3f52af12, v76
	v_add_f32_e32 v99, v114, v5
	v_fmamk_f32 v114, v33, 0x3f62ad3f, v115
	v_mul_f32_e32 v113, 0x3f52af12, v83
	v_mul_f32_e32 v116, 0xbe750f2a, v75
	;; [unrolled: 1-line block ×4, first 2 shown]
	v_add_f32_e32 v99, v114, v99
	v_fmamk_f32 v114, v35, 0xbf3f9e67, v117
	v_fmamk_f32 v97, v43, 0x3f116cb1, v113
	v_mul_f32_e32 v118, 0x3eedf032, v77
	v_fmamk_f32 v124, v45, 0xbeb58ec6, v122
	v_fmamk_f32 v129, v59, 0xbf7e222b, v127
	v_add_f32_e32 v99, v114, v99
	v_fmamk_f32 v114, v37, 0x3f116cb1, v119
	v_add_f32_e32 v97, v97, v100
	v_fma_f32 v100, 0xbf788fa5, v26, -v116
	v_fmac_f32_e32 v127, 0x3f7e222b, v59
	v_fma_f32 v120, 0x3f62ad3f, v27, -v118
	v_add_f32_e32 v99, v114, v99
	v_mul_f32_e32 v114, 0xbf3f9e67, v32
	v_add_f32_e32 v100, v100, v4
	v_mul_f32_e32 v121, 0xbf29c268, v80
	v_mul_f32_e32 v123, 0x3f52af12, v82
	v_add_f32_e32 v99, v124, v99
	v_fmamk_f32 v126, v54, 0x3f29c268, v114
	v_fmac_f32_e32 v114, 0xbf29c268, v54
	v_mul_f32_e32 v124, 0x3f116cb1, v35
	v_add_f32_e32 v100, v120, v100
	v_fma_f32 v120, 0xbf3f9e67, v34, -v121
	v_mul_f32_e32 v77, 0x3f7e222b, v77
	v_add_f32_e32 v114, v114, v5
	v_fmamk_f32 v130, v66, 0x3f52af12, v124
	v_fmac_f32_e32 v124, 0xbf52af12, v66
	v_add_f32_e32 v100, v120, v100
	v_fma_f32 v120, 0x3f116cb1, v36, -v123
	v_add_f32_e32 v114, v127, v114
	v_mul_f32_e32 v127, 0xbf29c268, v75
	v_mul_f32_e32 v75, 0xbf788fa5, v37
	;; [unrolled: 1-line block ×3, first 2 shown]
	v_fma_f32 v133, 0x3df6dbef, v27, -v77
	v_add_f32_e32 v114, v124, v114
	v_fma_f32 v132, 0xbf3f9e67, v26, -v127
	v_fmamk_f32 v124, v76, 0xbe750f2a, v75
	v_fmac_f32_e32 v75, 0x3e750f2a, v76
	v_mul_f32_e32 v134, 0xbf52af12, v80
	v_add_f32_e32 v100, v120, v100
	v_add_f32_e32 v132, v132, v4
	v_fma_f32 v120, 0xbeb58ec6, v39, -v125
	v_mul_f32_e32 v128, 0x3f7e222b, v87
	v_mul_f32_e32 v131, 0x3f7e222b, v83
	v_add_f32_e32 v75, v75, v114
	v_add_f32_e32 v114, v133, v132
	v_fma_f32 v132, 0x3f116cb1, v34, -v134
	v_mul_f32_e32 v82, 0x3e750f2a, v82
	v_fmac_f32_e32 v101, 0xbf6f5d39, v54
	v_add_f32_e32 v120, v120, v100
	v_fmamk_f32 v100, v49, 0x3df6dbef, v128
	v_fma_f32 v80, 0x3df6dbef, v43, -v131
	v_add_f32_e32 v114, v132, v114
	v_fma_f32 v132, 0xbf788fa5, v36, -v82
	v_mul_f32_e32 v54, 0x3eedf032, v84
	v_fma_f32 v84, 0xbeb58ec6, v26, -v103
	v_fmac_f32_e32 v102, 0x3f29c268, v59
	v_add_f32_e32 v59, v101, v5
	v_add_f32_e32 v100, v100, v99
	;; [unrolled: 1-line block ×4, first 2 shown]
	v_fma_f32 v101, 0x3f62ad3f, v39, -v54
	v_add_f32_e32 v84, v84, v4
	v_fma_f32 v106, 0xbf3f9e67, v27, -v106
	v_add_f32_e32 v59, v102, v59
	v_fmac_f32_e32 v104, 0x3eedf032, v66
	v_add_f32_e32 v66, v101, v80
	v_fmac_f32_e32 v105, 0xbf7e222b, v76
	v_add_f32_e32 v80, v106, v84
	v_fma_f32 v84, 0x3f62ad3f, v34, -v107
	v_add_f32_e32 v59, v104, v59
	v_mul_f32_e32 v135, 0x3f62ad3f, v45
	v_fmac_f32_e32 v110, 0x3e750f2a, v79
	v_fmac_f32_e32 v112, 0x3f52af12, v87
	v_add_f32_e32 v80, v84, v80
	v_fma_f32 v84, 0x3df6dbef, v36, -v108
	v_add_f32_e32 v59, v105, v59
	v_fmamk_f32 v133, v79, 0xbeedf032, v135
	v_fmac_f32_e32 v135, 0x3eedf032, v79
	v_mul_f32_e32 v103, 0xbeb58ec6, v49
	v_add_f32_e32 v79, v84, v80
	v_fma_f32 v80, 0xbf788fa5, v39, -v109
	v_add_f32_e32 v59, v110, v59
	v_fma_f32 v84, 0x3f116cb1, v43, -v113
	v_fmamk_f32 v101, v87, 0x3f6f5d39, v103
	v_fmac_f32_e32 v103, 0xbf6f5d39, v87
	v_add_f32_e32 v79, v80, v79
	v_add_f32_e32 v80, v112, v59
	v_mul_f32_e32 v59, 0x3df6dbef, v32
	v_fmamk_f32 v87, v26, 0xbf3f9e67, v127
	v_fmamk_f32 v77, v27, 0x3df6dbef, v77
	v_add_f32_e32 v79, v84, v79
	v_mul_f32_e32 v84, 0xbf788fa5, v33
	v_add_f32_e32 v59, v94, v59
	v_add_f32_e32 v87, v87, v4
	v_mul_f32_e32 v94, 0xbeb58ec6, v35
	v_fmamk_f32 v82, v36, 0xbf788fa5, v82
	v_add_f32_e32 v84, v96, v84
	v_add_f32_e32 v59, v59, v5
	;; [unrolled: 1-line block ×3, first 2 shown]
	v_fmamk_f32 v87, v34, 0x3f116cb1, v134
	v_fmamk_f32 v54, v39, 0x3f62ad3f, v54
	v_add_f32_e32 v7, v7, v5
	v_add_f32_e32 v59, v84, v59
	;; [unrolled: 1-line block ×3, first 2 shown]
	v_mul_f32_e32 v94, 0x3df6dbef, v26
	v_add_f32_e32 v77, v87, v77
	v_mul_f32_e32 v87, 0x3f62ad3f, v37
	v_add_f32_e32 v7, v21, v7
	v_add_f32_e32 v59, v84, v59
	v_mul_f32_e32 v84, 0xbf788fa5, v27
	v_sub_f32_e32 v85, v94, v85
	v_add_f32_e32 v77, v82, v77
	v_mul_f32_e32 v82, 0xbeb58ec6, v34
	v_add_f32_e32 v87, v93, v87
	v_sub_f32_e32 v84, v84, v86
	v_add_f32_e32 v85, v85, v4
	v_mul_f32_e32 v86, 0x3f116cb1, v26
	v_sub_f32_e32 v82, v82, v89
	v_mul_f32_e32 v89, 0x3f62ad3f, v36
	v_add_f32_e32 v59, v87, v59
	v_add_f32_e32 v84, v84, v85
	v_mul_f32_e32 v85, 0x3f116cb1, v32
	v_mul_f32_e32 v87, 0x3f116cb1, v45
	v_sub_f32_e32 v89, v89, v90
	v_mul_f32_e32 v90, 0xbeb58ec6, v27
	v_add_f32_e32 v77, v54, v77
	v_mul_f32_e32 v54, 0xbeb58ec6, v33
	v_add_f32_e32 v73, v73, v85
	v_mul_f32_e32 v85, 0xbf3f9e67, v49
	v_sub_f32_e32 v55, v86, v55
	v_add_f32_e32 v87, v92, v87
	v_add_f32_e32 v54, v74, v54
	v_mul_f32_e32 v74, 0xbf788fa5, v34
	v_add_f32_e32 v73, v73, v5
	v_add_f32_e32 v85, v91, v85
	v_mul_f32_e32 v91, 0xbf788fa5, v35
	v_sub_f32_e32 v60, v90, v60
	v_add_f32_e32 v55, v55, v4
	v_add_f32_e32 v82, v82, v84
	;; [unrolled: 1-line block ×3, first 2 shown]
	v_mul_f32_e32 v87, 0x3f116cb1, v39
	v_add_f32_e32 v54, v54, v73
	v_mul_f32_e32 v86, 0xbf3f9e67, v36
	v_add_f32_e32 v65, v65, v91
	;; [unrolled: 2-line block ×3, first 2 shown]
	v_sub_f32_e32 v61, v74, v61
	v_mul_f32_e32 v93, 0x3f62ad3f, v32
	v_add_f32_e32 v82, v89, v82
	v_sub_f32_e32 v87, v87, v88
	v_add_f32_e32 v54, v65, v54
	v_add_f32_e32 v67, v67, v91
	v_mul_f32_e32 v91, 0x3df6dbef, v39
	v_mul_f32_e32 v60, 0x3df6dbef, v45
	v_add_f32_e32 v55, v61, v55
	v_mul_f32_e32 v61, 0xbf3f9e67, v43
	v_sub_f32_e32 v62, v86, v62
	v_mul_f32_e32 v84, 0x3f116cb1, v33
	v_add_f32_e32 v82, v87, v82
	v_add_f32_e32 v67, v67, v54
	;; [unrolled: 1-line block ×3, first 2 shown]
	v_sub_f32_e32 v61, v61, v81
	v_add_f32_e32 v55, v62, v55
	v_sub_f32_e32 v62, v91, v63
	v_add_f32_e32 v63, v41, v93
	v_mul_f32_e32 v88, 0x3df6dbef, v35
	v_add_f32_e32 v67, v60, v67
	v_add_f32_e32 v60, v85, v59
	;; [unrolled: 1-line block ×7, first 2 shown]
	v_mul_f32_e32 v73, 0xbeb58ec6, v37
	v_add_f32_e32 v21, v46, v88
	v_add_f32_e32 v44, v44, v61
	v_add_f32_e32 v6, v20, v6
	v_add_f32_e32 v7, v17, v7
	v_mul_f32_e32 v65, 0xbf3f9e67, v45
	v_add_f32_e32 v20, v48, v73
	v_add_f32_e32 v21, v21, v44
	v_add_f32_e32 v6, v22, v6
	v_add_f32_e32 v7, v19, v7
	;; [unrolled: 5-line block ×3, first 2 shown]
	v_add_f32_e32 v7, v13, v7
	v_mul_f32_e32 v83, 0xbf6f5d39, v83
	v_mul_f32_e32 v94, 0x3f62ad3f, v26
	v_add_f32_e32 v19, v21, v20
	v_add_f32_e32 v13, v53, v95
	;; [unrolled: 1-line block ×5, first 2 shown]
	v_fma_f32 v75, 0xbeb58ec6, v43, -v83
	v_mul_f32_e32 v92, 0x3f116cb1, v27
	v_sub_f32_e32 v38, v94, v38
	v_add_f32_e32 v7, v13, v19
	v_add_f32_e32 v12, v12, v6
	v_fma_f32 v13, 0xbf788fa5, v32, -v111
	v_add_f32_e32 v9, v9, v15
	v_fmac_f32_e32 v116, 0xbf788fa5, v26
	v_add_f32_e32 v75, v75, v66
	v_add_f32_e32 v66, v126, v5
	v_mul_f32_e32 v89, 0x3df6dbef, v34
	v_add_f32_e32 v38, v38, v4
	v_sub_f32_e32 v40, v92, v40
	v_add_f32_e32 v12, v14, v12
	v_add_f32_e32 v5, v13, v5
	v_fma_f32 v13, 0x3f62ad3f, v33, -v115
	v_add_f32_e32 v9, v11, v9
	v_add_f32_e32 v4, v116, v4
	v_fmac_f32_e32 v118, 0x3f62ad3f, v27
	v_add_f32_e32 v66, v129, v66
	v_mul_f32_e32 v87, 0xbeb58ec6, v36
	v_add_f32_e32 v38, v40, v38
	v_sub_f32_e32 v40, v89, v42
	v_add_f32_e32 v8, v8, v12
	v_add_f32_e32 v5, v13, v5
	v_fma_f32 v11, 0xbf3f9e67, v35, -v117
	v_add_f32_e32 v1, v1, v9
	v_add_f32_e32 v4, v118, v4
	v_fmac_f32_e32 v121, 0xbf3f9e67, v34
	v_add_f32_e32 v66, v130, v66
	v_mul_f32_e32 v90, 0xbf3f9e67, v39
	v_add_f32_e32 v23, v40, v38
	v_sub_f32_e32 v17, v87, v47
	v_add_f32_e32 v8, v10, v8
	v_add_f32_e32 v5, v11, v5
	v_fma_f32 v9, 0x3f116cb1, v37, -v119
	v_add_f32_e32 v1, v3, v1
	v_add_f32_e32 v3, v121, v4
	v_fmac_f32_e32 v123, 0x3f116cb1, v36
	v_add_f32_e32 v66, v124, v66
	v_mul_f32_e32 v74, 0xbf788fa5, v43
	v_add_f32_e32 v17, v17, v23
	v_sub_f32_e32 v16, v90, v50
	v_add_f32_e32 v0, v0, v8
	v_add_f32_e32 v4, v9, v5
	v_fma_f32 v5, 0xbeb58ec6, v45, -v122
	v_mul_f32_e32 v68, 0x3f62ad3f, v43
	v_mul_f32_e32 v86, 0x3f62ad3f, v49
	v_add_f32_e32 v3, v123, v3
	v_fmac_f32_e32 v125, 0xbeb58ec6, v39
	v_add_f32_e32 v66, v133, v66
	v_add_f32_e32 v16, v16, v17
	v_sub_f32_e32 v17, v74, v51
	v_add_f32_e32 v0, v2, v0
	v_add_f32_e32 v2, v5, v4
	v_mov_b32_e32 v4, 3
	v_add_f32_e32 v78, v78, v86
	v_add_f32_e32 v55, v62, v55
	v_sub_f32_e32 v62, v68, v64
	v_fma_f32 v5, 0x3df6dbef, v49, -v128
	v_add_f32_e32 v8, v125, v3
	v_fmac_f32_e32 v131, 0x3df6dbef, v43
	v_add_f32_e32 v54, v101, v66
	v_fmamk_f32 v66, v43, 0xbeb58ec6, v83
	v_add_f32_e32 v6, v17, v16
	v_add_f32_e32 v1, v25, v1
	;; [unrolled: 1-line block ×3, first 2 shown]
	v_lshlrev_b32_sdwa v4, v4, v72 dst_sel:DWORD dst_unused:UNUSED_PAD src0_sel:DWORD src1_sel:WORD_0
	v_add_f32_e32 v41, v78, v67
	v_add_f32_e32 v40, v62, v55
	;; [unrolled: 1-line block ×5, first 2 shown]
	ds_write2_b64 v4, v[0:1], v[6:7] offset1:1
	ds_write2_b64 v4, v[40:41], v[59:60] offset0:2 offset1:3
	ds_write2_b64 v4, v[79:80], v[75:76] offset0:4 offset1:5
	;; [unrolled: 1-line block ×5, first 2 shown]
	ds_write_b64 v4, v[57:58] offset:96
.LBB0_7:
	s_or_b32 exec_lo, exec_lo, s4
	v_and_b32_e32 v0, 0xff, v71
	s_load_dwordx4 s[4:7], s[0:1], 0x0
	s_waitcnt lgkmcnt(0)
	s_barrier
	buffer_gl0_inv
	v_mul_lo_u16 v0, 0x4f, v0
	v_add_nc_u32_e32 v24, 0x400, v69
	v_add_nc_u32_e32 v67, 0x800, v69
	v_mov_b32_e32 v37, 0x82
	v_cmp_gt_u16_e64 s0, 26, v71
	v_lshrrev_b16 v36, 10, v0
	v_mul_lo_u16 v0, v36, 13
	v_mul_u32_u24_sdwa v41, v36, v37 dst_sel:DWORD dst_unused:UNUSED_PAD src0_sel:WORD_0 src1_sel:DWORD
	v_sub_nc_u16 v0, v71, v0
	v_and_b32_e32 v40, 0xff, v0
	v_mad_u64_u32 v[16:17], null, 0x48, v40, s[2:3]
	v_add_lshl_u32 v73, v41, v40, 3
	s_clause 0x4
	global_load_dwordx4 v[12:15], v[16:17], off
	global_load_dwordx4 v[8:11], v[16:17], off offset:16
	global_load_dwordx4 v[4:7], v[16:17], off offset:32
	;; [unrolled: 1-line block ×3, first 2 shown]
	global_load_dwordx2 v[59:60], v[16:17], off offset:64
	ds_read2_b64 v[16:19], v69 offset1:52
	ds_read2_b64 v[20:23], v69 offset0:104 offset1:156
	ds_read2_b64 v[24:27], v24 offset0:80 offset1:132
	;; [unrolled: 1-line block ×4, first 2 shown]
	s_waitcnt vmcnt(0) lgkmcnt(0)
	s_barrier
	buffer_gl0_inv
	v_mul_f32_e32 v40, v19, v13
	v_mul_f32_e32 v41, v18, v13
	;; [unrolled: 1-line block ×18, first 2 shown]
	v_fma_f32 v40, v18, v12, -v40
	v_fmac_f32_e32 v41, v19, v12
	v_fma_f32 v18, v20, v14, -v42
	v_fmac_f32_e32 v43, v21, v14
	;; [unrolled: 2-line block ×9, first 2 shown]
	v_add_f32_e32 v26, v16, v18
	v_add_f32_e32 v27, v20, v22
	v_sub_f32_e32 v34, v18, v20
	v_sub_f32_e32 v35, v24, v22
	v_add_f32_e32 v36, v18, v24
	v_sub_f32_e32 v37, v20, v18
	v_sub_f32_e32 v38, v22, v24
	;; [unrolled: 1-line block ×4, first 2 shown]
	v_add_f32_e32 v54, v40, v19
	v_add_f32_e32 v61, v21, v23
	;; [unrolled: 1-line block ×3, first 2 shown]
	v_sub_f32_e32 v32, v43, v55
	v_add_f32_e32 v39, v17, v43
	v_add_f32_e32 v42, v47, v51
	;; [unrolled: 1-line block ×3, first 2 shown]
	v_sub_f32_e32 v43, v47, v43
	v_sub_f32_e32 v52, v51, v55
	v_add_f32_e32 v68, v19, v25
	v_add_f32_e32 v76, v41, v45
	;; [unrolled: 1-line block ×3, first 2 shown]
	v_sub_f32_e32 v44, v20, v22
	v_sub_f32_e32 v63, v45, v62
	;; [unrolled: 1-line block ×6, first 2 shown]
	v_add_f32_e32 v20, v26, v20
	v_fma_f32 v83, -0.5, v27, v16
	v_add_f32_e32 v26, v34, v35
	v_fma_f32 v35, -0.5, v36, v16
	v_add_f32_e32 v16, v37, v38
	v_add_f32_e32 v34, v46, v48
	;; [unrolled: 1-line block ×3, first 2 shown]
	v_fma_f32 v38, -0.5, v61, v40
	v_fma_f32 v46, -0.5, v77, v41
	v_sub_f32_e32 v64, v49, v53
	v_add_f32_e32 v27, v39, v47
	v_fma_f32 v36, -0.5, v42, v17
	v_fma_f32 v37, -0.5, v50, v17
	v_add_f32_e32 v17, v43, v52
	v_fmac_f32_e32 v40, -0.5, v68
	v_add_f32_e32 v43, v76, v49
	v_fmac_f32_e32 v41, -0.5, v81
	v_sub_f32_e32 v66, v25, v23
	v_sub_f32_e32 v75, v23, v25
	;; [unrolled: 1-line block ×4, first 2 shown]
	v_add_f32_e32 v21, v21, v23
	v_fmamk_f32 v23, v63, 0x3f737871, v38
	v_fmamk_f32 v52, v19, 0xbf737871, v46
	v_sub_f32_e32 v33, v47, v51
	v_sub_f32_e32 v45, v49, v45
	;; [unrolled: 1-line block ×3, first 2 shown]
	v_add_f32_e32 v20, v20, v22
	v_add_f32_e32 v22, v27, v51
	v_fmamk_f32 v27, v64, 0xbf737871, v40
	v_fmac_f32_e32 v40, 0x3f737871, v64
	v_add_f32_e32 v43, v43, v53
	v_fmamk_f32 v53, v78, 0x3f737871, v41
	v_fmac_f32_e32 v41, 0xbf737871, v78
	v_fmac_f32_e32 v38, 0xbf737871, v63
	;; [unrolled: 1-line block ×3, first 2 shown]
	v_sub_f32_e32 v18, v18, v24
	v_add_f32_e32 v39, v65, v66
	v_add_f32_e32 v47, v79, v80
	v_fmac_f32_e32 v23, 0x3f167918, v64
	v_fmac_f32_e32 v52, 0xbf167918, v78
	v_add_f32_e32 v42, v74, v75
	v_add_f32_e32 v45, v45, v82
	v_fmamk_f32 v49, v33, 0xbf737871, v35
	v_fmac_f32_e32 v35, 0x3f737871, v33
	v_fmamk_f32 v51, v44, 0x3f737871, v37
	v_fmac_f32_e32 v37, 0xbf737871, v44
	v_fmac_f32_e32 v27, 0x3f167918, v63
	;; [unrolled: 1-line block ×7, first 2 shown]
	v_fmamk_f32 v48, v32, 0x3f737871, v83
	v_fmamk_f32 v50, v18, 0xbf737871, v36
	v_fmac_f32_e32 v23, 0x3e9e377a, v39
	v_fmac_f32_e32 v52, 0x3e9e377a, v47
	;; [unrolled: 1-line block ×4, first 2 shown]
	v_add_f32_e32 v20, v20, v24
	v_fmac_f32_e32 v49, 0x3f167918, v32
	v_fmac_f32_e32 v35, 0xbf167918, v32
	v_add_f32_e32 v22, v22, v55
	v_fmac_f32_e32 v51, 0xbf167918, v18
	v_fmac_f32_e32 v37, 0x3f167918, v18
	v_add_f32_e32 v18, v21, v25
	v_add_f32_e32 v21, v43, v62
	v_fmac_f32_e32 v27, 0x3e9e377a, v42
	v_fmac_f32_e32 v40, 0x3e9e377a, v42
	;; [unrolled: 1-line block ×8, first 2 shown]
	v_mul_f32_e32 v32, 0x3f167918, v52
	v_mul_f32_e32 v39, 0xbf167918, v23
	v_fmac_f32_e32 v83, 0xbf167918, v33
	v_fmac_f32_e32 v49, 0x3e9e377a, v16
	;; [unrolled: 1-line block ×5, first 2 shown]
	v_add_f32_e32 v16, v20, v18
	v_add_f32_e32 v17, v22, v21
	v_sub_f32_e32 v18, v20, v18
	v_sub_f32_e32 v19, v22, v21
	v_mul_f32_e32 v33, 0x3f737871, v53
	v_mul_f32_e32 v20, 0x3e9e377a, v40
	;; [unrolled: 1-line block ×4, first 2 shown]
	v_fmac_f32_e32 v36, 0x3f167918, v44
	v_mul_f32_e32 v21, 0x3f4f1bbd, v38
	v_mul_f32_e32 v24, 0x3f4f1bbd, v46
	v_fmac_f32_e32 v48, 0x3e9e377a, v26
	v_fmac_f32_e32 v50, 0x3e9e377a, v34
	;; [unrolled: 1-line block ×5, first 2 shown]
	v_fma_f32 v41, 0x3f737871, v41, -v20
	v_fmac_f32_e32 v43, 0x3e9e377a, v53
	v_fma_f32 v44, 0xbf737871, v40, -v22
	v_fmac_f32_e32 v83, 0x3e9e377a, v26
	v_fmac_f32_e32 v36, 0x3e9e377a, v34
	v_fma_f32 v42, 0x3f167918, v46, -v21
	v_fma_f32 v38, 0xbf167918, v38, -v24
	v_add_f32_e32 v20, v48, v32
	v_add_f32_e32 v21, v50, v39
	v_add_f32_e32 v22, v49, v33
	v_add_f32_e32 v24, v35, v41
	v_add_f32_e32 v23, v51, v43
	v_add_f32_e32 v25, v37, v44
	v_add_f32_e32 v26, v83, v42
	v_add_f32_e32 v27, v36, v38
	v_sub_f32_e32 v32, v48, v32
	v_sub_f32_e32 v34, v49, v33
	;; [unrolled: 1-line block ×8, first 2 shown]
	ds_write2_b64 v73, v[16:17], v[20:21] offset1:13
	ds_write2_b64 v73, v[22:23], v[24:25] offset0:26 offset1:39
	ds_write2_b64 v73, v[26:27], v[18:19] offset0:52 offset1:65
	;; [unrolled: 1-line block ×4, first 2 shown]
	s_waitcnt lgkmcnt(0)
	s_barrier
	buffer_gl0_inv
	ds_read2_b64 v[44:47], v69 offset1:52
	ds_read2_b64 v[32:35], v69 offset0:130 offset1:182
	ds_read2_b64 v[36:39], v67 offset0:4 offset1:56
	;; [unrolled: 1-line block ×3, first 2 shown]
	s_and_saveexec_b32 s1, s0
	s_cbranch_execz .LBB0_9
; %bb.8:
	ds_read2_b64 v[40:43], v69 offset0:104 offset1:234
	ds_read2_b64 v[28:31], v67 offset0:108 offset1:238
.LBB0_9:
	s_or_b32 exec_lo, exec_lo, s1
	v_mad_u64_u32 v[16:17], null, v71, 24, s[2:3]
	v_add_nc_u32_e32 v18, 0x68, v71
	v_subrev_nc_u32_e32 v19, 26, v71
	s_clause 0x1
	global_load_dwordx4 v[24:27], v[16:17], off offset:936
	global_load_dwordx2 v[65:66], v[16:17], off offset:952
	v_cndmask_b32_e64 v52, v19, v18, s0
	v_add_co_u32 v18, s1, 0x800, v16
	v_add_co_ci_u32_e64 v19, s1, 0, v17, s1
	v_add_co_u32 v16, s1, 0x888, v16
	v_add_co_ci_u32_e64 v17, s1, 0, v17, s1
	s_clause 0x1
	global_load_dwordx4 v[20:23], v[18:19], off offset:136
	global_load_dwordx2 v[63:64], v[16:17], off offset:16
	v_mul_i32_i24_e32 v18, 24, v52
	v_mul_hi_i32_i24_e32 v16, 24, v52
	v_add_co_u32 v52, s1, s2, v18
	v_add_co_ci_u32_e64 v53, s1, s3, v16, s1
	s_clause 0x1
	global_load_dwordx4 v[16:19], v[52:53], off offset:936
	global_load_dwordx2 v[61:62], v[52:53], off offset:952
	s_waitcnt vmcnt(5) lgkmcnt(2)
	v_mul_f32_e32 v52, v33, v25
	v_mul_f32_e32 v53, v32, v25
	s_waitcnt lgkmcnt(1)
	v_mul_f32_e32 v54, v37, v27
	v_mul_f32_e32 v55, v36, v27
	s_waitcnt vmcnt(4) lgkmcnt(0)
	v_mul_f32_e32 v68, v49, v66
	v_mul_f32_e32 v74, v48, v66
	v_fma_f32 v32, v32, v24, -v52
	v_fmac_f32_e32 v53, v33, v24
	v_fma_f32 v33, v36, v26, -v54
	v_fmac_f32_e32 v55, v37, v26
	;; [unrolled: 2-line block ×3, first 2 shown]
	s_waitcnt vmcnt(3)
	v_mul_f32_e32 v37, v35, v21
	v_mul_f32_e32 v48, v34, v21
	;; [unrolled: 1-line block ×4, first 2 shown]
	s_waitcnt vmcnt(2)
	v_mul_f32_e32 v54, v51, v64
	v_mul_f32_e32 v68, v50, v64
	v_fma_f32 v75, v34, v20, -v37
	v_fmac_f32_e32 v48, v35, v20
	v_fma_f32 v34, v38, v22, -v49
	v_fmac_f32_e32 v52, v39, v22
	;; [unrolled: 2-line block ×3, first 2 shown]
	v_sub_f32_e32 v49, v45, v55
	v_sub_f32_e32 v36, v32, v36
	;; [unrolled: 1-line block ×3, first 2 shown]
	s_waitcnt vmcnt(1)
	v_mul_f32_e32 v50, v43, v17
	v_mul_f32_e32 v51, v42, v17
	;; [unrolled: 1-line block ×4, first 2 shown]
	s_waitcnt vmcnt(0)
	v_mul_f32_e32 v74, v31, v62
	v_mul_f32_e32 v76, v30, v62
	v_sub_f32_e32 v33, v44, v33
	v_fma_f32 v45, v45, 2.0, -v49
	v_fma_f32 v53, v53, 2.0, -v37
	v_add_f32_e32 v39, v49, v36
	v_sub_f32_e32 v77, v46, v34
	v_sub_f32_e32 v52, v47, v52
	;; [unrolled: 1-line block ×3, first 2 shown]
	v_fma_f32 v42, v42, v16, -v50
	v_fmac_f32_e32 v51, v43, v16
	v_fma_f32 v28, v28, v18, -v54
	v_fmac_f32_e32 v55, v29, v18
	;; [unrolled: 2-line block ×3, first 2 shown]
	v_fma_f32 v44, v44, 2.0, -v33
	v_fma_f32 v32, v32, 2.0, -v36
	v_sub_f32_e32 v38, v33, v37
	v_sub_f32_e32 v78, v75, v35
	;; [unrolled: 1-line block ×3, first 2 shown]
	v_fma_f32 v35, v49, 2.0, -v39
	v_fma_f32 v30, v46, 2.0, -v77
	;; [unrolled: 1-line block ×4, first 2 shown]
	v_sub_f32_e32 v46, v77, v68
	v_sub_f32_e32 v28, v40, v28
	v_sub_f32_e32 v68, v41, v55
	v_sub_f32_e32 v29, v42, v29
	v_sub_f32_e32 v49, v51, v76
	v_sub_f32_e32 v36, v44, v32
	v_fma_f32 v34, v33, 2.0, -v38
	v_fma_f32 v43, v75, 2.0, -v78
	;; [unrolled: 1-line block ×3, first 2 shown]
	v_sub_f32_e32 v45, v31, v48
	v_fma_f32 v48, v40, 2.0, -v28
	v_fma_f32 v74, v41, 2.0, -v68
	;; [unrolled: 1-line block ×4, first 2 shown]
	v_add_f32_e32 v47, v52, v78
	v_fma_f32 v32, v44, 2.0, -v36
	v_sub_f32_e32 v44, v30, v43
	v_sub_f32_e32 v42, v28, v49
	v_add_f32_e32 v43, v68, v29
	v_sub_f32_e32 v40, v48, v40
	v_sub_f32_e32 v41, v74, v41
	v_fma_f32 v54, v77, 2.0, -v46
	v_fma_f32 v55, v52, 2.0, -v47
	;; [unrolled: 1-line block ×8, first 2 shown]
	ds_write2_b64 v69, v[32:33], v[52:53] offset1:52
	ds_write2_b64 v69, v[34:35], v[54:55] offset0:130 offset1:182
	ds_write2_b64 v67, v[36:37], v[44:45] offset0:4 offset1:56
	;; [unrolled: 1-line block ×3, first 2 shown]
	s_and_saveexec_b32 s1, s0
	s_cbranch_execz .LBB0_11
; %bb.10:
	v_add_nc_u32_e32 v28, 0x800, v69
	ds_write2_b64 v69, v[48:49], v[50:51] offset0:104 offset1:234
	ds_write2_b64 v28, v[40:41], v[42:43] offset0:108 offset1:238
.LBB0_11:
	s_or_b32 exec_lo, exec_lo, s1
	s_waitcnt lgkmcnt(0)
	s_barrier
	buffer_gl0_inv
	s_and_saveexec_b32 s2, vcc_lo
	s_cbranch_execz .LBB0_13
; %bb.12:
	s_add_u32 s8, s14, 0x1040
	s_addc_u32 s9, s15, 0
	v_add_co_u32 v30, s1, s8, v69
	global_load_dwordx2 v[28:29], v69, s[8:9]
	v_add_co_ci_u32_e64 v31, null, s9, 0, s1
	v_add_co_u32 v30, s1, 0x800, v30
	s_clause 0x3
	global_load_dwordx2 v[67:68], v69, s[8:9] offset:320
	global_load_dwordx2 v[94:95], v69, s[8:9] offset:640
	global_load_dwordx2 v[96:97], v69, s[8:9] offset:960
	global_load_dwordx2 v[98:99], v69, s[8:9] offset:1280
	v_add_co_ci_u32_e64 v31, s1, 0, v31, s1
	global_load_dwordx2 v[100:101], v69, s[8:9] offset:1600
	v_or_b32_e32 v74, 0xa00, v69
	s_clause 0x6
	global_load_dwordx2 v[102:103], v69, s[8:9] offset:1920
	global_load_dwordx2 v[104:105], v[30:31], off offset:192
	global_load_dwordx2 v[106:107], v74, s[8:9]
	global_load_dwordx2 v[108:109], v[30:31], off offset:832
	global_load_dwordx2 v[110:111], v[30:31], off offset:1152
	;; [unrolled: 1-line block ×4, first 2 shown]
	ds_read_b64 v[30:31], v69
	v_add_nc_u32_e32 v117, 0x800, v69
	s_waitcnt vmcnt(12) lgkmcnt(0)
	v_mul_f32_e32 v74, v31, v29
	v_mul_f32_e32 v75, v30, v29
	v_fma_f32 v74, v30, v28, -v74
	v_fmac_f32_e32 v75, v31, v28
	ds_write_b64 v69, v[74:75]
	ds_read2_b64 v[28:31], v69 offset0:40 offset1:80
	ds_read2_b64 v[74:77], v69 offset0:120 offset1:160
	;; [unrolled: 1-line block ×6, first 2 shown]
	s_waitcnt vmcnt(7) lgkmcnt(3)
	v_mul_f32_e32 v122, v79, v101
	v_mul_f32_e32 v118, v29, v68
	;; [unrolled: 1-line block ×10, first 2 shown]
	s_waitcnt vmcnt(6)
	v_mul_f32_e32 v123, v81, v103
	v_mul_f32_e32 v101, v80, v103
	s_waitcnt vmcnt(5) lgkmcnt(2)
	v_mul_f32_e32 v124, v83, v105
	v_mul_f32_e32 v103, v82, v105
	s_waitcnt vmcnt(4)
	v_mul_f32_e32 v125, v85, v107
	v_mul_f32_e32 v105, v84, v107
	s_waitcnt vmcnt(3) lgkmcnt(1)
	v_mul_f32_e32 v126, v87, v109
	v_mul_f32_e32 v107, v86, v109
	;; [unrolled: 6-line block ×3, first 2 shown]
	s_waitcnt vmcnt(0)
	v_mul_f32_e32 v129, v93, v115
	v_mul_f32_e32 v113, v92, v115
	v_fma_f32 v115, v28, v67, -v118
	v_fmac_f32_e32 v116, v29, v67
	v_fma_f32 v67, v30, v94, -v119
	v_fmac_f32_e32 v68, v31, v94
	;; [unrolled: 2-line block ×12, first 2 shown]
	ds_write2_b64 v69, v[115:116], v[67:68] offset0:40 offset1:80
	ds_write2_b64 v69, v[94:95], v[96:97] offset0:120 offset1:160
	;; [unrolled: 1-line block ×6, first 2 shown]
.LBB0_13:
	s_or_b32 exec_lo, exec_lo, s2
	s_waitcnt lgkmcnt(0)
	s_barrier
	buffer_gl0_inv
	s_and_saveexec_b32 s1, vcc_lo
	s_cbranch_execz .LBB0_15
; %bb.14:
	v_add_nc_u32_e32 v28, 0x400, v69
	v_add_nc_u32_e32 v29, 0x800, v69
	ds_read2_b64 v[32:35], v69 offset1:40
	ds_read2_b64 v[36:39], v69 offset0:80 offset1:120
	ds_read2_b64 v[52:55], v69 offset0:160 offset1:200
	;; [unrolled: 1-line block ×5, first 2 shown]
	ds_read_b64 v[57:58], v69 offset:3840
.LBB0_15:
	s_or_b32 exec_lo, exec_lo, s1
	s_waitcnt lgkmcnt(0)
	v_sub_f32_e32 v84, v35, v58
	v_add_f32_e32 v91, v58, v35
	v_add_f32_e32 v74, v57, v34
	v_sub_f32_e32 v87, v37, v43
	v_sub_f32_e32 v76, v34, v57
	v_mul_f32_e32 v94, 0xbf52af12, v84
	v_mul_f32_e32 v98, 0x3f116cb1, v91
	v_add_f32_e32 v75, v42, v36
	v_add_f32_e32 v92, v43, v37
	v_mul_f32_e32 v108, 0x3df6dbef, v91
	v_fma_f32 v28, 0x3f116cb1, v74, -v94
	v_mul_f32_e32 v96, 0xbf6f5d39, v87
	v_sub_f32_e32 v88, v39, v41
	v_fmamk_f32 v29, v76, 0xbf52af12, v98
	v_mul_f32_e32 v105, 0xbf7e222b, v84
	v_add_f32_e32 v28, v32, v28
	v_fmamk_f32 v31, v76, 0xbf7e222b, v108
	v_fma_f32 v67, 0xbeb58ec6, v75, -v96
	v_sub_f32_e32 v77, v36, v42
	v_mul_f32_e32 v102, 0xbeb58ec6, v92
	v_mul_f32_e32 v112, 0xbf788fa5, v92
	v_add_f32_e32 v78, v40, v38
	v_mul_f32_e32 v101, 0xbe750f2a, v88
	v_add_f32_e32 v95, v41, v39
	v_add_f32_e32 v29, v33, v29
	v_fma_f32 v30, 0x3df6dbef, v74, -v105
	v_add_f32_e32 v31, v33, v31
	v_add_f32_e32 v28, v67, v28
	v_fmamk_f32 v67, v77, 0xbf6f5d39, v102
	v_mul_f32_e32 v109, 0xbe750f2a, v87
	v_fmamk_f32 v80, v77, 0xbe750f2a, v112
	v_sub_f32_e32 v79, v38, v40
	v_fma_f32 v81, 0xbf788fa5, v78, -v101
	v_mul_f32_e32 v104, 0xbf788fa5, v95
	v_sub_f32_e32 v89, v53, v51
	v_add_f32_e32 v100, v51, v53
	v_add_f32_e32 v30, v32, v30
	v_fma_f32 v68, 0xbf788fa5, v75, -v109
	v_add_f32_e32 v29, v67, v29
	v_add_f32_e32 v31, v80, v31
	;; [unrolled: 1-line block ×3, first 2 shown]
	v_fmamk_f32 v67, v79, 0xbe750f2a, v104
	v_mul_f32_e32 v114, 0x3f6f5d39, v88
	v_mul_f32_e32 v117, 0xbeb58ec6, v95
	v_add_f32_e32 v80, v50, v52
	v_mul_f32_e32 v103, 0x3f29c268, v89
	v_sub_f32_e32 v81, v52, v50
	v_mul_f32_e32 v106, 0xbf3f9e67, v100
	v_add_f32_e32 v30, v68, v30
	v_fma_f32 v68, 0xbeb58ec6, v78, -v114
	v_fmamk_f32 v82, v79, 0x3f6f5d39, v117
	v_fma_f32 v83, 0xbf3f9e67, v80, -v103
	v_add_f32_e32 v29, v67, v29
	v_fmamk_f32 v67, v81, 0x3f29c268, v106
	v_mul_f32_e32 v115, 0x3eedf032, v89
	v_sub_f32_e32 v90, v55, v49
	v_add_f32_e32 v97, v49, v55
	v_add_f32_e32 v30, v68, v30
	v_add_f32_e32 v31, v82, v31
	v_add_f32_e32 v28, v83, v28
	v_add_f32_e32 v29, v67, v29
	v_mul_f32_e32 v119, 0x3f62ad3f, v100
	v_fma_f32 v67, 0x3f62ad3f, v80, -v115
	v_add_f32_e32 v82, v48, v54
	v_mul_f32_e32 v107, 0x3f7e222b, v90
	v_sub_f32_e32 v83, v54, v48
	v_mul_f32_e32 v110, 0x3df6dbef, v97
	v_mul_f32_e32 v116, 0xbf52af12, v90
	v_fmamk_f32 v68, v81, 0x3eedf032, v119
	v_fma_f32 v85, 0x3df6dbef, v82, -v107
	v_add_f32_e32 v30, v67, v30
	v_fmamk_f32 v67, v83, 0x3f7e222b, v110
	v_fma_f32 v86, 0x3f116cb1, v82, -v116
	v_mul_f32_e32 v120, 0x3f116cb1, v97
	v_sub_f32_e32 v93, v45, v47
	v_add_f32_e32 v99, v47, v45
	v_add_f32_e32 v31, v68, v31
	;; [unrolled: 1-line block ×5, first 2 shown]
	v_fmamk_f32 v30, v83, 0xbf52af12, v120
	v_add_f32_e32 v85, v46, v44
	v_sub_f32_e32 v86, v44, v46
	v_mul_f32_e32 v111, 0x3eedf032, v93
	v_mul_f32_e32 v113, 0x3f62ad3f, v99
	;; [unrolled: 1-line block ×4, first 2 shown]
	v_add_f32_e32 v68, v30, v31
	v_fma_f32 v30, 0x3f62ad3f, v85, -v111
	v_fmamk_f32 v31, v86, 0x3eedf032, v113
	v_fma_f32 v122, 0xbf3f9e67, v85, -v118
	v_fmamk_f32 v123, v86, 0xbf29c268, v121
	v_add_f32_e32 v30, v30, v28
	v_add_f32_e32 v31, v31, v29
	;; [unrolled: 1-line block ×4, first 2 shown]
	s_barrier
	buffer_gl0_inv
	s_and_saveexec_b32 s1, vcc_lo
	s_cbranch_execz .LBB0_17
; %bb.16:
	v_mul_f32_e32 v126, 0xbf6f5d39, v76
	v_mul_f32_e32 v127, 0x3f29c268, v77
	;; [unrolled: 1-line block ×5, first 2 shown]
	v_fmamk_f32 v67, v91, 0xbeb58ec6, v126
	v_fmamk_f32 v68, v92, 0xbf3f9e67, v127
	v_fma_f32 v122, 0xbeb58ec6, v74, -v144
	v_mul_f32_e32 v148, 0xbf7e222b, v81
	v_fma_f32 v123, 0xbf3f9e67, v75, -v147
	v_add_f32_e32 v67, v33, v67
	v_mul_f32_e32 v149, 0x3eedf032, v88
	v_add_f32_e32 v122, v32, v122
	v_mul_f32_e32 v150, 0x3e750f2a, v83
	v_mul_f32_e32 v151, 0xbf7e222b, v89
	v_add_f32_e32 v67, v68, v67
	v_fmamk_f32 v68, v95, 0x3f62ad3f, v145
	v_add_f32_e32 v122, v123, v122
	v_fma_f32 v123, 0x3f62ad3f, v78, -v149
	v_mul_f32_e32 v152, 0x3f52af12, v86
	v_mul_f32_e32 v153, 0x3e750f2a, v90
	v_add_f32_e32 v67, v68, v67
	v_fmamk_f32 v68, v100, 0x3df6dbef, v148
	v_add_f32_e32 v122, v123, v122
	v_fma_f32 v123, 0x3df6dbef, v80, -v151
	;; [unrolled: 6-line block ×3, first 2 shown]
	v_mul_f32_e32 v156, 0xbf29c268, v84
	v_mul_f32_e32 v157, 0xbf52af12, v79
	v_add_f32_e32 v67, v68, v67
	v_fmamk_f32 v68, v99, 0x3f116cb1, v152
	v_add_f32_e32 v122, v123, v122
	v_fmamk_f32 v123, v92, 0x3df6dbef, v125
	v_fma_f32 v159, 0xbf3f9e67, v74, -v156
	v_mul_f32_e32 v160, 0x3f7e222b, v87
	v_add_f32_e32 v68, v68, v67
	v_fmamk_f32 v67, v91, 0xbf3f9e67, v124
	v_mul_f32_e32 v161, 0x3e750f2a, v81
	v_add_f32_e32 v159, v32, v159
	v_fma_f32 v162, 0x3df6dbef, v75, -v160
	v_mul_f32_e32 v163, 0xbf52af12, v88
	v_add_f32_e32 v67, v33, v67
	v_mul_f32_e32 v164, 0x3eedf032, v83
	v_mul_f32_e32 v155, 0x3f52af12, v93
	v_add_f32_e32 v159, v162, v159
	v_fma_f32 v162, 0x3f116cb1, v78, -v163
	v_add_f32_e32 v67, v123, v67
	v_fmamk_f32 v123, v95, 0x3f116cb1, v157
	v_mul_f32_e32 v165, 0x3e750f2a, v89
	v_mul_f32_e32 v166, 0xbf6f5d39, v86
	v_fma_f32 v158, 0x3f116cb1, v85, -v155
	v_add_f32_e32 v159, v162, v159
	v_add_f32_e32 v67, v123, v67
	v_fmamk_f32 v123, v100, 0xbf788fa5, v161
	v_fma_f32 v162, 0xbf788fa5, v80, -v165
	v_mul_f32_e32 v167, 0x3eedf032, v90
	v_fmamk_f32 v168, v99, 0xbeb58ec6, v166
	v_mul_f32_e32 v169, 0xbf788fa5, v91
	v_add_f32_e32 v67, v123, v67
	v_fmamk_f32 v123, v97, 0x3f62ad3f, v164
	v_add_f32_e32 v159, v162, v159
	v_fma_f32 v162, 0x3f62ad3f, v82, -v167
	v_mul_f32_e32 v171, 0xbf3f9e67, v95
	v_mul_f32_e32 v174, 0x3eedf032, v87
	v_add_f32_e32 v123, v123, v67
	v_add_f32_e32 v67, v158, v122
	v_fmamk_f32 v122, v76, 0x3e750f2a, v169
	v_mul_f32_e32 v158, 0x3f62ad3f, v92
	v_add_f32_e32 v159, v162, v159
	v_add_f32_e32 v123, v168, v123
	v_mul_f32_e32 v168, 0xbe750f2a, v84
	v_mul_f32_e32 v162, 0xbf6f5d39, v93
	v_add_f32_e32 v122, v33, v122
	v_fmamk_f32 v170, v77, 0xbeedf032, v158
	v_mul_f32_e32 v175, 0x3f116cb1, v100
	v_fmamk_f32 v173, v74, 0xbf788fa5, v168
	v_fma_f32 v172, 0xbeb58ec6, v85, -v162
	v_fmamk_f32 v176, v75, 0x3f62ad3f, v174
	v_add_f32_e32 v122, v170, v122
	v_fmamk_f32 v170, v79, 0x3f29c268, v171
	v_add_f32_e32 v173, v32, v173
	v_mul_f32_e32 v128, 0x3df6dbef, v74
	v_fmamk_f32 v178, v81, 0xbf52af12, v175
	v_fma_f32 v124, 0xbf3f9e67, v91, -v124
	v_add_f32_e32 v170, v170, v122
	v_add_f32_e32 v122, v172, v159
	;; [unrolled: 1-line block ×3, first 2 shown]
	v_mul_f32_e32 v176, 0xbeb58ec6, v97
	v_mul_f32_e32 v131, 0xbf52af12, v76
	v_mul_f32_e32 v134, 0xbf788fa5, v75
	v_add_f32_e32 v170, v178, v170
	v_add_f32_e32 v124, v33, v124
	v_fma_f32 v125, 0x3df6dbef, v92, -v125
	v_fmamk_f32 v179, v83, 0x3f6f5d39, v176
	v_mul_f32_e32 v180, 0x3df6dbef, v99
	v_add_f32_e32 v105, v128, v105
	v_mul_f32_e32 v133, 0xbf6f5d39, v77
	v_mul_f32_e32 v138, 0xbeb58ec6, v78
	v_add_f32_e32 v124, v125, v124
	v_fma_f32 v125, 0x3f116cb1, v95, -v157
	v_add_f32_e32 v157, v179, v170
	v_fmamk_f32 v170, v86, 0xbf7e222b, v180
	v_add_f32_e32 v105, v32, v105
	v_add_f32_e32 v109, v134, v109
	v_sub_f32_e32 v98, v98, v131
	v_mul_f32_e32 v130, 0x3f116cb1, v74
	v_mul_f32_e32 v137, 0xbe750f2a, v79
	;; [unrolled: 1-line block ×3, first 2 shown]
	v_add_f32_e32 v179, v125, v124
	v_add_f32_e32 v125, v170, v157
	v_fma_f32 v157, 0xbf788fa5, v100, -v161
	v_add_f32_e32 v105, v109, v105
	v_add_f32_e32 v109, v138, v114
	;; [unrolled: 1-line block ×3, first 2 shown]
	v_sub_f32_e32 v102, v102, v133
	v_mul_f32_e32 v132, 0xbeb58ec6, v75
	v_mul_f32_e32 v141, 0x3f29c268, v81
	v_mul_f32_e32 v182, 0x3f116cb1, v82
	v_add_f32_e32 v157, v157, v179
	v_fma_f32 v164, 0x3f62ad3f, v97, -v164
	v_add_f32_e32 v105, v109, v105
	v_add_f32_e32 v109, v142, v115
	;; [unrolled: 1-line block ×4, first 2 shown]
	v_sub_f32_e32 v104, v104, v137
	v_mul_f32_e32 v136, 0xbf788fa5, v78
	v_add_f32_e32 v157, v164, v157
	v_mul_f32_e32 v164, 0xbf3f9e67, v85
	v_add_f32_e32 v105, v109, v105
	v_add_f32_e32 v109, v182, v116
	;; [unrolled: 1-line block ×5, first 2 shown]
	v_sub_f32_e32 v104, v106, v141
	v_mul_f32_e32 v140, 0xbf3f9e67, v80
	v_mul_f32_e32 v154, 0x3f7e222b, v83
	v_fma_f32 v126, 0xbeb58ec6, v91, -v126
	v_add_f32_e32 v105, v109, v105
	v_add_f32_e32 v94, v96, v94
	;; [unrolled: 1-line block ×5, first 2 shown]
	v_mul_f32_e32 v104, 0x3f62ad3f, v91
	v_mul_f32_e32 v146, 0x3df6dbef, v82
	v_add_f32_e32 v126, v33, v126
	v_fma_f32 v127, 0xbf3f9e67, v92, -v127
	v_sub_f32_e32 v91, v110, v154
	v_add_f32_e32 v94, v96, v94
	v_add_f32_e32 v96, v140, v103
	;; [unrolled: 1-line block ×3, first 2 shown]
	v_fmamk_f32 v103, v76, 0x3eedf032, v104
	v_mul_f32_e32 v105, 0x3f116cb1, v92
	v_add_f32_e32 v35, v35, v33
	v_mul_f32_e32 v161, 0x3f62ad3f, v85
	v_mul_f32_e32 v170, 0x3eedf032, v86
	v_add_f32_e32 v126, v127, v126
	v_fma_f32 v145, 0x3f62ad3f, v95, -v145
	v_add_f32_e32 v91, v91, v98
	v_add_f32_e32 v92, v96, v94
	;; [unrolled: 1-line block ×4, first 2 shown]
	v_fmamk_f32 v98, v77, 0x3f52af12, v105
	v_mul_f32_e32 v95, 0x3df6dbef, v95
	v_add_f32_e32 v35, v37, v35
	v_add_f32_e32 v34, v34, v32
	;; [unrolled: 1-line block ×3, first 2 shown]
	v_fma_f32 v145, 0x3df6dbef, v100, -v148
	v_sub_f32_e32 v103, v113, v170
	v_add_f32_e32 v94, v94, v92
	v_add_f32_e32 v106, v161, v111
	;; [unrolled: 1-line block ×3, first 2 shown]
	v_fmamk_f32 v98, v79, 0x3f7e222b, v95
	v_mul_f32_e32 v100, 0xbeb58ec6, v100
	v_add_f32_e32 v35, v39, v35
	v_add_f32_e32 v34, v36, v34
	v_fma_f32 v150, 0xbf788fa5, v97, -v150
	v_add_f32_e32 v92, v103, v91
	v_add_f32_e32 v91, v106, v94
	;; [unrolled: 1-line block ×3, first 2 shown]
	v_fmamk_f32 v96, v81, 0x3f6f5d39, v100
	v_mul_f32_e32 v97, 0xbf3f9e67, v97
	v_mul_f32_e32 v84, 0xbeedf032, v84
	v_add_f32_e32 v35, v53, v35
	v_add_f32_e32 v34, v38, v34
	;; [unrolled: 1-line block ×3, first 2 shown]
	v_fmamk_f32 v36, v83, 0x3f29c268, v97
	v_fmamk_f32 v39, v74, 0x3f62ad3f, v84
	v_mul_f32_e32 v87, 0xbf52af12, v87
	v_add_f32_e32 v35, v55, v35
	v_add_f32_e32 v34, v52, v34
	;; [unrolled: 1-line block ×4, first 2 shown]
	v_fmamk_f32 v38, v75, 0x3f116cb1, v87
	v_mul_f32_e32 v39, 0xbf7e222b, v88
	v_mul_f32_e32 v52, 0xbf788fa5, v99
	v_add_f32_e32 v35, v45, v35
	v_add_f32_e32 v34, v54, v34
	;; [unrolled: 1-line block ×3, first 2 shown]
	v_fmamk_f32 v38, v78, 0x3df6dbef, v39
	v_mul_f32_e32 v45, 0xbf6f5d39, v89
	v_fmamk_f32 v53, v86, 0x3e750f2a, v52
	v_add_f32_e32 v47, v47, v35
	v_add_f32_e32 v34, v44, v34
	;; [unrolled: 1-line block ×3, first 2 shown]
	v_fmamk_f32 v38, v80, 0xbeb58ec6, v45
	v_add_f32_e32 v35, v53, v36
	v_add_f32_e32 v36, v49, v47
	;; [unrolled: 1-line block ×3, first 2 shown]
	v_fmac_f32_e32 v169, 0xbe750f2a, v76
	v_add_f32_e32 v37, v38, v37
	v_mul_f32_e32 v38, 0xbf29c268, v90
	v_add_f32_e32 v36, v51, v36
	v_add_f32_e32 v34, v48, v34
	;; [unrolled: 1-line block ×3, first 2 shown]
	v_fmac_f32_e32 v158, 0x3eedf032, v77
	v_mul_f32_e32 v177, 0xbf29c268, v88
	v_fmamk_f32 v46, v82, 0xbf3f9e67, v38
	v_mul_f32_e32 v47, 0xbe750f2a, v93
	v_add_f32_e32 v36, v41, v36
	v_add_f32_e32 v34, v50, v34
	;; [unrolled: 1-line block ×3, first 2 shown]
	v_fmac_f32_e32 v171, 0xbf29c268, v79
	v_mul_f32_e32 v129, 0xbf7e222b, v76
	v_fmamk_f32 v172, v78, 0xbf3f9e67, v177
	v_mul_f32_e32 v173, 0x3f52af12, v89
	v_add_f32_e32 v37, v46, v37
	v_fmamk_f32 v44, v85, 0xbf788fa5, v47
	v_add_f32_e32 v36, v43, v36
	v_add_f32_e32 v40, v40, v34
	;; [unrolled: 1-line block ×3, first 2 shown]
	v_fmac_f32_e32 v175, 0x3f52af12, v81
	v_fma_f32 v43, 0xbf788fa5, v74, -v168
	v_mul_f32_e32 v135, 0xbe750f2a, v77
	v_add_f32_e32 v159, v172, v159
	v_fmamk_f32 v172, v80, 0x3f116cb1, v173
	v_mul_f32_e32 v178, 0xbf6f5d39, v90
	v_sub_f32_e32 v108, v108, v129
	v_fmac_f32_e32 v156, 0xbf3f9e67, v74
	v_fmac_f32_e32 v144, 0xbeb58ec6, v74
	v_add_f32_e32 v34, v44, v37
	v_add_f32_e32 v37, v58, v36
	;; [unrolled: 1-line block ×5, first 2 shown]
	v_fma_f32 v42, 0x3f62ad3f, v75, -v174
	v_fmac_f32_e32 v104, 0xbeedf032, v76
	v_fma_f32 v43, 0x3f62ad3f, v74, -v84
	v_mul_f32_e32 v139, 0x3f6f5d39, v79
	v_add_f32_e32 v159, v172, v159
	v_fmamk_f32 v172, v82, 0xbeb58ec6, v178
	v_mul_f32_e32 v181, 0x3f7e222b, v93
	v_add_f32_e32 v108, v33, v108
	v_sub_f32_e32 v112, v112, v135
	v_add_f32_e32 v156, v32, v156
	v_fmac_f32_e32 v160, 0x3df6dbef, v75
	v_add_f32_e32 v144, v32, v144
	v_fmac_f32_e32 v147, 0xbf3f9e67, v75
	v_add_f32_e32 v41, v42, v41
	v_fma_f32 v42, 0xbf3f9e67, v78, -v177
	v_add_f32_e32 v33, v33, v104
	v_fmac_f32_e32 v105, 0xbf52af12, v77
	v_add_f32_e32 v32, v32, v43
	v_fma_f32 v43, 0x3f116cb1, v75, -v87
	v_mul_f32_e32 v143, 0x3eedf032, v81
	v_add_f32_e32 v159, v172, v159
	v_fmamk_f32 v172, v85, 0x3df6dbef, v181
	v_add_f32_e32 v108, v112, v108
	v_sub_f32_e32 v112, v117, v139
	v_add_f32_e32 v156, v160, v156
	v_fmac_f32_e32 v163, 0x3f116cb1, v78
	v_add_f32_e32 v144, v147, v144
	v_fmac_f32_e32 v149, 0x3f62ad3f, v78
	v_add_f32_e32 v41, v42, v41
	v_fma_f32 v42, 0x3f116cb1, v80, -v173
	v_add_f32_e32 v33, v105, v33
	v_fmac_f32_e32 v95, 0xbf7e222b, v79
	v_add_f32_e32 v32, v43, v32
	v_fma_f32 v39, 0x3df6dbef, v78, -v39
	v_add_f32_e32 v124, v172, v159
	v_mul_f32_e32 v159, 0xbf52af12, v83
	v_add_f32_e32 v108, v112, v108
	v_sub_f32_e32 v112, v119, v143
	v_add_f32_e32 v156, v163, v156
	v_fmac_f32_e32 v165, 0xbf788fa5, v80
	v_add_f32_e32 v144, v149, v144
	v_fmac_f32_e32 v151, 0x3df6dbef, v80
	v_add_f32_e32 v41, v42, v41
	v_fma_f32 v42, 0xbeb58ec6, v82, -v178
	v_add_f32_e32 v33, v95, v33
	v_fmac_f32_e32 v100, 0xbf6f5d39, v81
	v_add_f32_e32 v32, v39, v32
	v_fma_f32 v39, 0xbeb58ec6, v80, -v45
	v_mul_f32_e32 v160, 0xbf29c268, v86
	v_add_f32_e32 v108, v112, v108
	v_sub_f32_e32 v112, v120, v159
	v_add_f32_e32 v156, v165, v156
	v_fmac_f32_e32 v167, 0x3f62ad3f, v82
	v_add_f32_e32 v145, v145, v126
	v_add_f32_e32 v128, v151, v144
	v_fmac_f32_e32 v153, 0xbf788fa5, v82
	v_fmac_f32_e32 v176, 0xbf6f5d39, v83
	v_add_f32_e32 v41, v42, v41
	v_add_f32_e32 v33, v100, v33
	v_fmac_f32_e32 v97, 0xbf29c268, v83
	v_add_f32_e32 v32, v39, v32
	v_fma_f32 v38, 0xbf3f9e67, v82, -v38
	v_mov_b32_e32 v42, 3
	v_add_f32_e32 v108, v112, v108
	v_sub_f32_e32 v112, v121, v160
	v_fma_f32 v166, 0xbeb58ec6, v99, -v166
	v_add_f32_e32 v148, v167, v156
	v_fmac_f32_e32 v162, 0xbeb58ec6, v85
	v_add_f32_e32 v129, v150, v145
	v_fma_f32 v145, 0x3f116cb1, v99, -v152
	v_add_f32_e32 v117, v153, v128
	v_fmac_f32_e32 v155, 0x3f116cb1, v85
	v_add_f32_e32 v40, v176, v40
	v_fmac_f32_e32 v180, 0x3f7e222b, v86
	v_fma_f32 v39, 0x3df6dbef, v85, -v181
	v_add_f32_e32 v36, v57, v36
	v_add_f32_e32 v43, v97, v33
	v_fmac_f32_e32 v52, 0xbe750f2a, v86
	v_add_f32_e32 v38, v38, v32
	v_fma_f32 v44, 0xbf788fa5, v85, -v47
	v_lshlrev_b32_sdwa v42, v42, v72 dst_sel:DWORD dst_unused:UNUSED_PAD src0_sel:DWORD src1_sel:WORD_0
	v_add_f32_e32 v102, v112, v108
	v_add_f32_e32 v127, v166, v157
	;; [unrolled: 1-line block ×9, first 2 shown]
	ds_write2_b64 v42, v[36:37], v[34:35] offset1:1
	ds_write2_b64 v42, v[91:92], v[101:102] offset0:2 offset1:3
	ds_write2_b64 v42, v[128:129], v[126:127] offset0:4 offset1:5
	;; [unrolled: 1-line block ×5, first 2 shown]
	ds_write_b64 v42, v[38:39] offset:96
.LBB0_17:
	s_or_b32 exec_lo, exec_lo, s1
	s_waitcnt lgkmcnt(0)
	s_barrier
	buffer_gl0_inv
	ds_read2_b64 v[32:35], v69 offset1:52
	ds_read2_b64 v[37:40], v69 offset0:104 offset1:156
	v_add_nc_u32_e32 v41, 0x400, v69
	v_add_nc_u32_e32 v36, 0x800, v69
	ds_read2_b64 v[41:44], v41 offset0:80 offset1:132
	ds_read2_b64 v[45:48], v36 offset0:56 offset1:108
	ds_read2_b64 v[49:52], v36 offset0:160 offset1:212
	s_waitcnt lgkmcnt(0)
	s_barrier
	buffer_gl0_inv
	v_mul_f32_e32 v53, v13, v35
	v_mul_f32_e32 v13, v13, v34
	;; [unrolled: 1-line block ×6, first 2 shown]
	v_fmac_f32_e32 v53, v12, v34
	v_fma_f32 v12, v12, v35, -v13
	v_fmac_f32_e32 v54, v14, v37
	v_fma_f32 v13, v14, v38, -v15
	;; [unrolled: 2-line block ×3, first 2 shown]
	v_mul_f32_e32 v9, v11, v42
	v_mul_f32_e32 v14, v5, v44
	v_mul_f32_e32 v5, v5, v43
	v_mul_f32_e32 v15, v7, v46
	v_mul_f32_e32 v7, v7, v45
	v_fmac_f32_e32 v9, v10, v41
	v_fmac_f32_e32 v14, v4, v43
	v_fma_f32 v4, v4, v44, -v5
	v_fmac_f32_e32 v15, v6, v45
	v_mul_f32_e32 v5, v3, v49
	v_mul_f32_e32 v3, v3, v50
	;; [unrolled: 1-line block ×3, first 2 shown]
	v_fma_f32 v6, v6, v46, -v7
	v_add_f32_e32 v7, v9, v15
	v_fma_f32 v5, v2, v50, -v5
	v_fmac_f32_e32 v3, v2, v49
	v_fma_f32 v10, v10, v42, -v11
	v_mul_f32_e32 v11, v1, v48
	v_mul_f32_e32 v1, v1, v47
	v_add_f32_e32 v35, v32, v54
	v_fma_f32 v37, -0.5, v7, v32
	v_sub_f32_e32 v7, v13, v5
	v_sub_f32_e32 v38, v54, v9
	;; [unrolled: 1-line block ×3, first 2 shown]
	v_add_f32_e32 v40, v54, v3
	v_fmac_f32_e32 v11, v0, v47
	v_fma_f32 v0, v0, v48, -v1
	v_add_f32_e32 v1, v35, v9
	v_fmamk_f32 v2, v7, 0xbf737871, v37
	v_sub_f32_e32 v35, v10, v6
	v_mul_f32_e32 v41, v60, v51
	v_add_f32_e32 v38, v38, v39
	v_fma_f32 v39, -0.5, v40, v32
	v_fmac_f32_e32 v37, 0x3f737871, v7
	v_add_f32_e32 v43, v33, v13
	v_add_f32_e32 v1, v1, v15
	v_fmac_f32_e32 v2, 0xbf167918, v35
	v_fma_f32 v32, v59, v52, -v41
	v_fmamk_f32 v40, v35, 0x3f737871, v39
	v_sub_f32_e32 v41, v9, v54
	v_sub_f32_e32 v42, v15, v3
	v_fmac_f32_e32 v37, 0x3f167918, v35
	v_add_f32_e32 v44, v10, v6
	v_fmac_f32_e32 v39, 0xbf737871, v35
	v_add_f32_e32 v35, v43, v10
	v_add_f32_e32 v1, v1, v3
	v_fmac_f32_e32 v2, 0x3e9e377a, v38
	v_fmac_f32_e32 v40, 0xbf167918, v7
	v_add_f32_e32 v41, v41, v42
	v_fma_f32 v42, -0.5, v44, v33
	v_sub_f32_e32 v3, v54, v3
	v_fmac_f32_e32 v37, 0x3e9e377a, v38
	v_fmac_f32_e32 v39, 0x3f167918, v7
	v_add_f32_e32 v7, v35, v6
	v_add_f32_e32 v38, v13, v5
	v_mul_f32_e32 v34, v60, v52
	v_fmamk_f32 v35, v3, 0x3f737871, v42
	v_sub_f32_e32 v9, v9, v15
	v_sub_f32_e32 v15, v13, v10
	;; [unrolled: 1-line block ×3, first 2 shown]
	v_fma_f32 v38, -0.5, v38, v33
	v_add_f32_e32 v33, v7, v5
	v_fmac_f32_e32 v42, 0xbf737871, v3
	v_sub_f32_e32 v5, v6, v5
	v_add_f32_e32 v6, v53, v55
	v_fmac_f32_e32 v34, v59, v51
	v_fmac_f32_e32 v40, 0x3e9e377a, v41
	;; [unrolled: 1-line block ×4, first 2 shown]
	v_add_f32_e32 v7, v15, v43
	v_fmamk_f32 v41, v9, 0xbf737871, v38
	v_sub_f32_e32 v10, v10, v13
	v_fmac_f32_e32 v42, 0xbf167918, v9
	v_fmac_f32_e32 v38, 0x3f737871, v9
	v_add_f32_e32 v6, v6, v14
	v_add_f32_e32 v9, v14, v11
	v_fmac_f32_e32 v35, 0x3e9e377a, v7
	v_fmac_f32_e32 v41, 0x3f167918, v3
	v_add_f32_e32 v5, v10, v5
	v_fmac_f32_e32 v42, 0x3e9e377a, v7
	v_fmac_f32_e32 v38, 0xbf167918, v3
	v_add_f32_e32 v3, v6, v11
	v_fma_f32 v7, -0.5, v9, v53
	v_add_f32_e32 v6, v55, v34
	v_sub_f32_e32 v9, v8, v32
	v_fmac_f32_e32 v41, 0x3e9e377a, v5
	v_fmac_f32_e32 v38, 0x3e9e377a, v5
	v_sub_f32_e32 v5, v4, v0
	v_fmac_f32_e32 v53, -0.5, v6
	v_fmamk_f32 v13, v9, 0xbf737871, v7
	v_sub_f32_e32 v6, v55, v14
	v_sub_f32_e32 v10, v34, v11
	v_fmac_f32_e32 v7, 0x3f737871, v9
	v_fmamk_f32 v15, v5, 0x3f737871, v53
	v_fmac_f32_e32 v13, 0xbf167918, v5
	v_sub_f32_e32 v43, v14, v55
	v_add_f32_e32 v6, v6, v10
	v_fmac_f32_e32 v7, 0x3f167918, v5
	v_sub_f32_e32 v44, v11, v34
	v_fmac_f32_e32 v53, 0xbf737871, v5
	v_add_f32_e32 v5, v4, v0
	v_fmac_f32_e32 v13, 0x3e9e377a, v6
	v_fmac_f32_e32 v7, 0x3e9e377a, v6
	v_add_f32_e32 v6, v8, v32
	v_fmac_f32_e32 v15, 0xbf167918, v9
	v_add_f32_e32 v10, v43, v44
	v_fmac_f32_e32 v53, 0x3f167918, v9
	v_fma_f32 v5, -0.5, v5, v12
	v_sub_f32_e32 v9, v55, v34
	v_add_f32_e32 v3, v3, v34
	v_add_f32_e32 v34, v12, v8
	v_sub_f32_e32 v11, v14, v11
	v_fmac_f32_e32 v12, -0.5, v6
	v_fmac_f32_e32 v15, 0x3e9e377a, v10
	v_fmac_f32_e32 v53, 0x3e9e377a, v10
	v_fmamk_f32 v14, v9, 0x3f737871, v5
	v_sub_f32_e32 v6, v8, v4
	v_sub_f32_e32 v10, v32, v0
	v_fmamk_f32 v43, v11, 0xbf737871, v12
	v_sub_f32_e32 v8, v4, v8
	v_sub_f32_e32 v44, v0, v32
	v_fmac_f32_e32 v12, 0x3f737871, v11
	v_fmac_f32_e32 v5, 0xbf737871, v9
	;; [unrolled: 1-line block ×3, first 2 shown]
	v_add_f32_e32 v6, v6, v10
	v_fmac_f32_e32 v43, 0x3f167918, v9
	v_add_f32_e32 v8, v8, v44
	v_fmac_f32_e32 v12, 0xbf167918, v9
	v_fmac_f32_e32 v5, 0xbf167918, v11
	v_add_f32_e32 v4, v34, v4
	v_fmac_f32_e32 v14, 0x3e9e377a, v6
	v_fmac_f32_e32 v43, 0x3e9e377a, v8
	;; [unrolled: 1-line block ×4, first 2 shown]
	v_add_f32_e32 v0, v4, v0
	v_mul_f32_e32 v34, 0xbf167918, v14
	v_mul_f32_e32 v48, 0x3f4f1bbd, v14
	;; [unrolled: 1-line block ×8, first 2 shown]
	v_add_f32_e32 v46, v0, v32
	v_fmac_f32_e32 v34, 0x3f4f1bbd, v13
	v_fmac_f32_e32 v48, 0x3f167918, v13
	;; [unrolled: 1-line block ×8, first 2 shown]
	v_add_f32_e32 v4, v1, v3
	v_add_f32_e32 v6, v2, v34
	;; [unrolled: 1-line block ×10, first 2 shown]
	v_sub_f32_e32 v14, v1, v3
	v_sub_f32_e32 v15, v33, v46
	;; [unrolled: 1-line block ×10, first 2 shown]
	ds_write2_b64 v73, v[4:5], v[6:7] offset1:13
	ds_write2_b64 v73, v[8:9], v[10:11] offset0:26 offset1:39
	ds_write2_b64 v73, v[12:13], v[14:15] offset0:52 offset1:65
	ds_write2_b64 v73, v[32:33], v[34:35] offset0:78 offset1:91
	ds_write2_b64 v73, v[0:1], v[2:3] offset0:104 offset1:117
	s_waitcnt lgkmcnt(0)
	s_barrier
	buffer_gl0_inv
	ds_read2_b64 v[4:7], v69 offset1:52
	ds_read2_b64 v[32:35], v69 offset0:130 offset1:182
	ds_read2_b64 v[8:11], v36 offset0:4 offset1:56
	ds_read2_b64 v[12:15], v36 offset0:134 offset1:186
	s_and_saveexec_b32 s1, s0
	s_cbranch_execz .LBB0_19
; %bb.18:
	ds_read2_b64 v[0:3], v69 offset0:104 offset1:234
	ds_read2_b64 v[28:31], v36 offset0:108 offset1:238
.LBB0_19:
	s_or_b32 exec_lo, exec_lo, s1
	s_waitcnt lgkmcnt(2)
	v_mul_f32_e32 v37, v25, v33
	v_mul_f32_e32 v25, v25, v32
	s_waitcnt lgkmcnt(1)
	v_mul_f32_e32 v38, v27, v9
	v_mul_f32_e32 v27, v27, v8
	v_fmac_f32_e32 v37, v24, v32
	v_fma_f32 v24, v24, v33, -v25
	v_fmac_f32_e32 v38, v26, v8
	s_waitcnt lgkmcnt(0)
	v_mul_f32_e32 v8, v66, v13
	v_mul_f32_e32 v25, v66, v12
	v_fma_f32 v9, v26, v9, -v27
	v_mul_f32_e32 v26, v21, v35
	v_mul_f32_e32 v21, v21, v34
	v_fmac_f32_e32 v8, v65, v12
	v_mul_f32_e32 v12, v23, v11
	v_fma_f32 v13, v65, v13, -v25
	v_mul_f32_e32 v27, v64, v14
	v_fmac_f32_e32 v26, v20, v34
	v_sub_f32_e32 v25, v37, v8
	v_fmac_f32_e32 v12, v22, v10
	v_mul_f32_e32 v8, v23, v10
	v_sub_f32_e32 v10, v24, v13
	v_mul_f32_e32 v13, v64, v15
	v_fma_f32 v20, v20, v35, -v21
	v_sub_f32_e32 v23, v5, v9
	v_fma_f32 v11, v22, v11, -v8
	v_sub_f32_e32 v21, v4, v38
	v_fmac_f32_e32 v13, v63, v14
	v_fma_f32 v14, v63, v15, -v27
	v_fma_f32 v32, v5, 2.0, -v23
	v_fma_f32 v5, v24, 2.0, -v10
	v_sub_f32_e32 v22, v6, v12
	v_sub_f32_e32 v24, v7, v11
	;; [unrolled: 1-line block ×4, first 2 shown]
	v_fma_f32 v9, v4, 2.0, -v21
	v_fma_f32 v4, v37, 2.0, -v25
	;; [unrolled: 1-line block ×6, first 2 shown]
	v_sub_f32_e32 v4, v9, v4
	v_sub_f32_e32 v5, v32, v5
	v_add_f32_e32 v10, v21, v10
	v_sub_f32_e32 v12, v27, v7
	v_sub_f32_e32 v13, v33, v13
	;; [unrolled: 1-line block ×3, first 2 shown]
	v_add_f32_e32 v14, v22, v14
	v_sub_f32_e32 v15, v24, v15
	v_fma_f32 v8, v9, 2.0, -v4
	v_fma_f32 v9, v32, 2.0, -v5
	;; [unrolled: 1-line block ×8, first 2 shown]
	ds_write2_b64 v69, v[8:9], v[20:21] offset1:52
	ds_write2_b64 v69, v[6:7], v[22:23] offset0:130 offset1:182
	ds_write2_b64 v36, v[4:5], v[12:13] offset0:4 offset1:56
	;; [unrolled: 1-line block ×3, first 2 shown]
	s_and_saveexec_b32 s1, s0
	s_cbranch_execz .LBB0_21
; %bb.20:
	v_mul_f32_e32 v4, v19, v28
	v_mul_f32_e32 v5, v17, v3
	;; [unrolled: 1-line block ×6, first 2 shown]
	v_fma_f32 v4, v18, v29, -v4
	v_fmac_f32_e32 v5, v16, v2
	v_fma_f32 v2, v16, v3, -v7
	v_fma_f32 v3, v61, v31, -v8
	v_fmac_f32_e32 v6, v18, v28
	v_fmac_f32_e32 v9, v61, v30
	v_sub_f32_e32 v4, v1, v4
	v_sub_f32_e32 v3, v2, v3
	;; [unrolled: 1-line block ×4, first 2 shown]
	v_fma_f32 v8, v1, 2.0, -v4
	v_fma_f32 v2, v2, 2.0, -v3
	;; [unrolled: 1-line block ×4, first 2 shown]
	v_sub_f32_e32 v1, v4, v7
	v_add_f32_e32 v0, v6, v3
	v_sub_f32_e32 v3, v8, v2
	v_sub_f32_e32 v2, v9, v5
	v_fma_f32 v5, v4, 2.0, -v1
	v_fma_f32 v4, v6, 2.0, -v0
	;; [unrolled: 1-line block ×3, first 2 shown]
	v_add_nc_u32_e32 v8, 0x800, v69
	v_fma_f32 v6, v9, 2.0, -v2
	ds_write2_b64 v69, v[6:7], v[4:5] offset0:104 offset1:234
	ds_write2_b64 v8, v[2:3], v[0:1] offset0:108 offset1:238
.LBB0_21:
	s_or_b32 exec_lo, exec_lo, s1
	s_waitcnt lgkmcnt(0)
	s_barrier
	buffer_gl0_inv
	s_and_b32 exec_lo, exec_lo, vcc_lo
	s_cbranch_execz .LBB0_23
; %bb.22:
	v_lshlrev_b32_e32 v0, 3, v70
	s_clause 0x6
	global_load_dwordx2 v[24:25], v69, s[14:15]
	global_load_dwordx2 v[26:27], v69, s[14:15] offset:320
	global_load_dwordx2 v[28:29], v69, s[14:15] offset:640
	;; [unrolled: 1-line block ×6, first 2 shown]
	v_mad_u64_u32 v[2:3], null, s4, v71, 0
	s_mul_hi_u32 s1, s4, 0x140
	global_load_dwordx2 v[38:39], v0, s[14:15]
	v_add_co_u32 v0, s0, s14, v69
	v_add_co_ci_u32_e64 v1, null, s15, 0, s0
	s_mul_i32 s0, s5, 0x140
	v_add_co_u32 v0, vcc_lo, 0x800, v0
	v_add_co_ci_u32_e32 v1, vcc_lo, 0, v1, vcc_lo
	s_mul_i32 s2, s4, 0x140
	s_add_i32 s3, s1, s0
	s_clause 0x4
	global_load_dwordx2 v[40:41], v[0:1], off offset:192
	global_load_dwordx2 v[42:43], v[0:1], off offset:832
	;; [unrolled: 1-line block ×5, first 2 shown]
	v_mad_u64_u32 v[0:1], null, s6, v56, 0
	v_mad_u64_u32 v[66:67], null, s4, v70, 0
	v_add_nc_u32_e32 v20, 0x800, v69
	s_mov_b32 s0, 0x1f81f820
	s_mov_b32 s1, 0x3f5f81f8
	v_mad_u64_u32 v[4:5], null, s7, v56, v[1:2]
	v_mad_u64_u32 v[5:6], null, s5, v71, v[3:4]
	v_mov_b32_e32 v1, v4
	v_mov_b32_e32 v4, v67
	v_lshlrev_b64 v[0:1], 3, v[0:1]
	v_mov_b32_e32 v3, v5
	v_mad_u64_u32 v[12:13], null, s5, v70, v[4:5]
	v_lshlrev_b64 v[2:3], 3, v[2:3]
	v_add_co_u32 v77, vcc_lo, s12, v0
	v_add_co_ci_u32_e32 v78, vcc_lo, s13, v1, vcc_lo
	v_mov_b32_e32 v67, v12
	v_add_co_u32 v50, vcc_lo, v77, v2
	v_add_co_ci_u32_e32 v51, vcc_lo, v78, v3, vcc_lo
	ds_read_b64 v[73:74], v69
	ds_read2_b64 v[0:3], v69 offset0:40 offset1:80
	v_add_co_u32 v52, vcc_lo, v50, s2
	v_add_co_ci_u32_e32 v53, vcc_lo, s3, v51, vcc_lo
	ds_read2_b64 v[4:7], v69 offset0:120 offset1:160
	v_add_co_u32 v54, vcc_lo, v52, s2
	v_add_co_ci_u32_e32 v55, vcc_lo, s3, v53, vcc_lo
	v_lshlrev_b64 v[66:67], 3, v[66:67]
	v_add_co_u32 v56, vcc_lo, v54, s2
	v_add_co_ci_u32_e32 v57, vcc_lo, s3, v55, vcc_lo
	v_add_co_u32 v58, vcc_lo, v56, s2
	v_add_co_ci_u32_e32 v59, vcc_lo, s3, v57, vcc_lo
	;; [unrolled: 2-line block ×5, first 2 shown]
	v_mad_u64_u32 v[71:72], null, 0x280, s4, v[64:65]
	v_mov_b32_e32 v8, v72
	v_add_co_u32 v68, vcc_lo, v71, s2
	v_mad_u64_u32 v[75:76], null, 0x280, s5, v[8:9]
	ds_read2_b64 v[8:11], v69 offset0:200 offset1:240
	ds_read2_b64 v[12:15], v20 offset0:24 offset1:64
	;; [unrolled: 1-line block ×4, first 2 shown]
	v_mov_b32_e32 v72, v75
	v_add_co_ci_u32_e32 v69, vcc_lo, s3, v72, vcc_lo
	s_waitcnt vmcnt(12) lgkmcnt(6)
	v_mul_f32_e32 v70, v74, v25
	v_mul_f32_e32 v25, v73, v25
	s_waitcnt vmcnt(11) lgkmcnt(5)
	v_mul_f32_e32 v75, v1, v27
	v_mul_f32_e32 v27, v0, v27
	s_waitcnt vmcnt(10)
	v_mul_f32_e32 v76, v3, v29
	v_mul_f32_e32 v29, v2, v29
	v_fmac_f32_e32 v70, v73, v24
	s_waitcnt vmcnt(9) lgkmcnt(4)
	v_mul_f32_e32 v79, v5, v31
	v_mul_f32_e32 v31, v4, v31
	s_waitcnt vmcnt(8)
	v_mul_f32_e32 v80, v7, v33
	v_mul_f32_e32 v33, v6, v33
	s_waitcnt vmcnt(5) lgkmcnt(2)
	v_mul_f32_e32 v83, v15, v39
	v_mul_f32_e32 v39, v14, v39
	;; [unrolled: 1-line block ×4, first 2 shown]
	v_fma_f32 v24, v24, v74, -v25
	v_mul_f32_e32 v82, v11, v37
	v_mul_f32_e32 v37, v10, v37
	v_fmac_f32_e32 v75, v0, v26
	v_fma_f32 v25, v26, v1, -v27
	v_fmac_f32_e32 v76, v2, v28
	v_fma_f32 v26, v28, v3, -v29
	v_cvt_f64_f32_e32 v[0:1], v70
	s_waitcnt vmcnt(4)
	v_mul_f32_e32 v70, v13, v41
	v_mul_f32_e32 v41, v12, v41
	v_fmac_f32_e32 v79, v4, v30
	v_fma_f32 v27, v30, v5, -v31
	v_fmac_f32_e32 v80, v6, v32
	v_fma_f32 v30, v32, v7, -v33
	;; [unrolled: 2-line block ×3, first 2 shown]
	s_waitcnt vmcnt(3) lgkmcnt(1)
	v_mul_f32_e32 v38, v17, v43
	v_mul_f32_e32 v39, v16, v43
	v_fmac_f32_e32 v81, v8, v34
	v_fma_f32 v34, v34, v9, -v35
	v_cvt_f64_f32_e32 v[2:3], v24
	s_waitcnt vmcnt(2)
	v_mul_f32_e32 v43, v19, v45
	v_mul_f32_e32 v45, v18, v45
	v_fmac_f32_e32 v82, v10, v36
	v_fma_f32 v73, v36, v11, -v37
	v_cvt_f64_f32_e32 v[4:5], v75
	v_cvt_f64_f32_e32 v[6:7], v25
	s_waitcnt vmcnt(1) lgkmcnt(0)
	v_mul_f32_e32 v75, v21, v47
	v_mul_f32_e32 v47, v20, v47
	v_cvt_f64_f32_e32 v[8:9], v76
	v_cvt_f64_f32_e32 v[10:11], v26
	s_waitcnt vmcnt(0)
	v_mul_f32_e32 v76, v23, v49
	v_mul_f32_e32 v49, v22, v49
	v_fmac_f32_e32 v70, v12, v40
	v_fma_f32 v40, v40, v13, -v41
	v_cvt_f64_f32_e32 v[24:25], v79
	v_cvt_f64_f32_e32 v[26:27], v27
	;; [unrolled: 1-line block ×4, first 2 shown]
	v_fmac_f32_e32 v38, v16, v42
	v_fma_f32 v39, v42, v17, -v39
	v_cvt_f64_f32_e32 v[32:33], v81
	v_cvt_f64_f32_e32 v[34:35], v34
	v_fmac_f32_e32 v43, v18, v44
	v_fma_f32 v41, v44, v19, -v45
	v_cvt_f64_f32_e32 v[36:37], v82
	v_cvt_f64_f32_e32 v[73:74], v73
	;; [unrolled: 4-line block ×4, first 2 shown]
	v_cvt_f64_f32_e32 v[20:21], v38
	v_cvt_f64_f32_e32 v[22:23], v39
	;; [unrolled: 1-line block ×8, first 2 shown]
	v_mul_f64 v[0:1], v[0:1], s[0:1]
	v_mul_f64 v[2:3], v[2:3], s[0:1]
	;; [unrolled: 1-line block ×26, first 2 shown]
	v_cvt_f32_f64_e32 v0, v[0:1]
	v_cvt_f32_f64_e32 v1, v[2:3]
	;; [unrolled: 1-line block ×26, first 2 shown]
	v_add_co_u32 v26, vcc_lo, v68, s2
	v_add_co_ci_u32_e32 v27, vcc_lo, s3, v69, vcc_lo
	v_add_co_u32 v28, vcc_lo, v77, v66
	v_add_co_ci_u32_e32 v29, vcc_lo, v78, v67, vcc_lo
	v_add_co_u32 v30, vcc_lo, v26, s2
	v_add_co_ci_u32_e32 v31, vcc_lo, s3, v27, vcc_lo
	global_store_dwordx2 v[50:51], v[0:1], off
	global_store_dwordx2 v[52:53], v[2:3], off
	;; [unrolled: 1-line block ×13, first 2 shown]
.LBB0_23:
	s_endpgm
	.section	.rodata,"a",@progbits
	.p2align	6, 0x0
	.amdhsa_kernel bluestein_single_back_len520_dim1_sp_op_CI_CI
		.amdhsa_group_segment_fixed_size 4160
		.amdhsa_private_segment_fixed_size 0
		.amdhsa_kernarg_size 104
		.amdhsa_user_sgpr_count 6
		.amdhsa_user_sgpr_private_segment_buffer 1
		.amdhsa_user_sgpr_dispatch_ptr 0
		.amdhsa_user_sgpr_queue_ptr 0
		.amdhsa_user_sgpr_kernarg_segment_ptr 1
		.amdhsa_user_sgpr_dispatch_id 0
		.amdhsa_user_sgpr_flat_scratch_init 0
		.amdhsa_user_sgpr_private_segment_size 0
		.amdhsa_wavefront_size32 1
		.amdhsa_uses_dynamic_stack 0
		.amdhsa_system_sgpr_private_segment_wavefront_offset 0
		.amdhsa_system_sgpr_workgroup_id_x 1
		.amdhsa_system_sgpr_workgroup_id_y 0
		.amdhsa_system_sgpr_workgroup_id_z 0
		.amdhsa_system_sgpr_workgroup_info 0
		.amdhsa_system_vgpr_workitem_id 0
		.amdhsa_next_free_vgpr 183
		.amdhsa_next_free_sgpr 16
		.amdhsa_reserve_vcc 1
		.amdhsa_reserve_flat_scratch 0
		.amdhsa_float_round_mode_32 0
		.amdhsa_float_round_mode_16_64 0
		.amdhsa_float_denorm_mode_32 3
		.amdhsa_float_denorm_mode_16_64 3
		.amdhsa_dx10_clamp 1
		.amdhsa_ieee_mode 1
		.amdhsa_fp16_overflow 0
		.amdhsa_workgroup_processor_mode 1
		.amdhsa_memory_ordered 1
		.amdhsa_forward_progress 0
		.amdhsa_shared_vgpr_count 0
		.amdhsa_exception_fp_ieee_invalid_op 0
		.amdhsa_exception_fp_denorm_src 0
		.amdhsa_exception_fp_ieee_div_zero 0
		.amdhsa_exception_fp_ieee_overflow 0
		.amdhsa_exception_fp_ieee_underflow 0
		.amdhsa_exception_fp_ieee_inexact 0
		.amdhsa_exception_int_div_zero 0
	.end_amdhsa_kernel
	.text
.Lfunc_end0:
	.size	bluestein_single_back_len520_dim1_sp_op_CI_CI, .Lfunc_end0-bluestein_single_back_len520_dim1_sp_op_CI_CI
                                        ; -- End function
	.section	.AMDGPU.csdata,"",@progbits
; Kernel info:
; codeLenInByte = 13096
; NumSgprs: 18
; NumVgprs: 183
; ScratchSize: 0
; MemoryBound: 0
; FloatMode: 240
; IeeeMode: 1
; LDSByteSize: 4160 bytes/workgroup (compile time only)
; SGPRBlocks: 2
; VGPRBlocks: 22
; NumSGPRsForWavesPerEU: 18
; NumVGPRsForWavesPerEU: 183
; Occupancy: 5
; WaveLimiterHint : 1
; COMPUTE_PGM_RSRC2:SCRATCH_EN: 0
; COMPUTE_PGM_RSRC2:USER_SGPR: 6
; COMPUTE_PGM_RSRC2:TRAP_HANDLER: 0
; COMPUTE_PGM_RSRC2:TGID_X_EN: 1
; COMPUTE_PGM_RSRC2:TGID_Y_EN: 0
; COMPUTE_PGM_RSRC2:TGID_Z_EN: 0
; COMPUTE_PGM_RSRC2:TIDIG_COMP_CNT: 0
	.text
	.p2alignl 6, 3214868480
	.fill 48, 4, 3214868480
	.type	__hip_cuid_f085eb6e10d5b4dc,@object ; @__hip_cuid_f085eb6e10d5b4dc
	.section	.bss,"aw",@nobits
	.globl	__hip_cuid_f085eb6e10d5b4dc
__hip_cuid_f085eb6e10d5b4dc:
	.byte	0                               ; 0x0
	.size	__hip_cuid_f085eb6e10d5b4dc, 1

	.ident	"AMD clang version 19.0.0git (https://github.com/RadeonOpenCompute/llvm-project roc-6.4.0 25133 c7fe45cf4b819c5991fe208aaa96edf142730f1d)"
	.section	".note.GNU-stack","",@progbits
	.addrsig
	.addrsig_sym __hip_cuid_f085eb6e10d5b4dc
	.amdgpu_metadata
---
amdhsa.kernels:
  - .args:
      - .actual_access:  read_only
        .address_space:  global
        .offset:         0
        .size:           8
        .value_kind:     global_buffer
      - .actual_access:  read_only
        .address_space:  global
        .offset:         8
        .size:           8
        .value_kind:     global_buffer
      - .actual_access:  read_only
        .address_space:  global
        .offset:         16
        .size:           8
        .value_kind:     global_buffer
      - .actual_access:  read_only
        .address_space:  global
        .offset:         24
        .size:           8
        .value_kind:     global_buffer
      - .actual_access:  read_only
        .address_space:  global
        .offset:         32
        .size:           8
        .value_kind:     global_buffer
      - .offset:         40
        .size:           8
        .value_kind:     by_value
      - .address_space:  global
        .offset:         48
        .size:           8
        .value_kind:     global_buffer
      - .address_space:  global
        .offset:         56
        .size:           8
        .value_kind:     global_buffer
      - .address_space:  global
        .offset:         64
        .size:           8
        .value_kind:     global_buffer
      - .address_space:  global
        .offset:         72
        .size:           8
        .value_kind:     global_buffer
      - .offset:         80
        .size:           4
        .value_kind:     by_value
      - .address_space:  global
        .offset:         88
        .size:           8
        .value_kind:     global_buffer
      - .address_space:  global
        .offset:         96
        .size:           8
        .value_kind:     global_buffer
    .group_segment_fixed_size: 4160
    .kernarg_segment_align: 8
    .kernarg_segment_size: 104
    .language:       OpenCL C
    .language_version:
      - 2
      - 0
    .max_flat_workgroup_size: 52
    .name:           bluestein_single_back_len520_dim1_sp_op_CI_CI
    .private_segment_fixed_size: 0
    .sgpr_count:     18
    .sgpr_spill_count: 0
    .symbol:         bluestein_single_back_len520_dim1_sp_op_CI_CI.kd
    .uniform_work_group_size: 1
    .uses_dynamic_stack: false
    .vgpr_count:     183
    .vgpr_spill_count: 0
    .wavefront_size: 32
    .workgroup_processor_mode: 1
amdhsa.target:   amdgcn-amd-amdhsa--gfx1030
amdhsa.version:
  - 1
  - 2
...

	.end_amdgpu_metadata
